;; amdgpu-corpus repo=ROCm/AMDMIGraphX kind=compiled arch=gfx906 opt=O3
	.text
	.amdgcn_target "amdgcn-amd-amdhsa--gfx906"
	.amdhsa_code_object_version 6
	.p2align	2                               ; -- Begin function _ZNK8migraphx13basic_printerIZNS_4coutEvEUlT_E_ElsEPKc
	.type	_ZNK8migraphx13basic_printerIZNS_4coutEvEUlT_E_ElsEPKc,@function
_ZNK8migraphx13basic_printerIZNS_4coutEvEUlT_E_ElsEPKc: ; @_ZNK8migraphx13basic_printerIZNS_4coutEvEUlT_E_ElsEPKc
; %bb.0:
	s_waitcnt vmcnt(0) expcnt(0) lgkmcnt(0)
	s_load_dwordx2 s[6:7], s[8:9], 0x50
	v_mbcnt_lo_u32_b32 v2, -1, 0
	v_mbcnt_hi_u32_b32 v35, -1, v2
	v_readfirstlane_b32 s4, v35
	v_mov_b32_e32 v7, 0
	v_mov_b32_e32 v8, 0
	v_cmp_eq_u32_e64 s[4:5], s4, v35
	s_and_saveexec_b64 s[8:9], s[4:5]
	s_cbranch_execz .LBB0_6
; %bb.1:
	v_mov_b32_e32 v2, 0
	s_waitcnt lgkmcnt(0)
	global_load_dwordx2 v[5:6], v2, s[6:7] offset:24 glc
	s_waitcnt vmcnt(0)
	buffer_wbinvl1_vol
	global_load_dwordx2 v[3:4], v2, s[6:7] offset:40
	global_load_dwordx2 v[7:8], v2, s[6:7]
	s_waitcnt vmcnt(1)
	v_and_b32_e32 v3, v3, v5
	v_and_b32_e32 v4, v4, v6
	v_mul_lo_u32 v4, v4, 24
	v_mul_hi_u32 v9, v3, 24
	v_mul_lo_u32 v3, v3, 24
	v_add_u32_e32 v4, v9, v4
	s_waitcnt vmcnt(0)
	v_add_co_u32_e32 v3, vcc, v7, v3
	v_addc_co_u32_e32 v4, vcc, v8, v4, vcc
	global_load_dwordx2 v[3:4], v[3:4], off glc
	s_waitcnt vmcnt(0)
	global_atomic_cmpswap_x2 v[7:8], v2, v[3:6], s[6:7] offset:24 glc
	s_waitcnt vmcnt(0)
	buffer_wbinvl1_vol
	v_cmp_ne_u64_e32 vcc, v[7:8], v[5:6]
	s_and_saveexec_b64 s[10:11], vcc
	s_cbranch_execz .LBB0_5
; %bb.2:
	s_mov_b64 s[12:13], 0
.LBB0_3:                                ; =>This Inner Loop Header: Depth=1
	s_sleep 1
	global_load_dwordx2 v[3:4], v2, s[6:7] offset:40
	global_load_dwordx2 v[9:10], v2, s[6:7]
	v_mov_b32_e32 v5, v7
	v_mov_b32_e32 v6, v8
	s_waitcnt vmcnt(1)
	v_and_b32_e32 v3, v3, v5
	s_waitcnt vmcnt(0)
	v_mad_u64_u32 v[7:8], s[14:15], v3, 24, v[9:10]
	v_and_b32_e32 v4, v4, v6
	v_mov_b32_e32 v3, v8
	v_mad_u64_u32 v[3:4], s[14:15], v4, 24, v[3:4]
	v_mov_b32_e32 v8, v3
	global_load_dwordx2 v[3:4], v[7:8], off glc
	s_waitcnt vmcnt(0)
	global_atomic_cmpswap_x2 v[7:8], v2, v[3:6], s[6:7] offset:24 glc
	s_waitcnt vmcnt(0)
	buffer_wbinvl1_vol
	v_cmp_eq_u64_e32 vcc, v[7:8], v[5:6]
	s_or_b64 s[12:13], vcc, s[12:13]
	s_andn2_b64 exec, exec, s[12:13]
	s_cbranch_execnz .LBB0_3
; %bb.4:
	s_or_b64 exec, exec, s[12:13]
.LBB0_5:
	s_or_b64 exec, exec, s[10:11]
.LBB0_6:
	s_or_b64 exec, exec, s[8:9]
	v_mov_b32_e32 v6, 0
	s_waitcnt lgkmcnt(0)
	global_load_dwordx2 v[9:10], v6, s[6:7] offset:40
	global_load_dwordx4 v[2:5], v6, s[6:7]
	v_readfirstlane_b32 s8, v7
	v_readfirstlane_b32 s9, v8
	s_mov_b64 s[10:11], exec
	s_waitcnt vmcnt(1)
	v_readfirstlane_b32 s12, v9
	v_readfirstlane_b32 s13, v10
	s_and_b64 s[12:13], s[8:9], s[12:13]
	s_mul_i32 s14, s13, 24
	s_mul_hi_u32 s15, s12, 24
	s_mul_i32 s16, s12, 24
	s_add_i32 s14, s15, s14
	v_mov_b32_e32 v7, s14
	s_waitcnt vmcnt(0)
	v_add_co_u32_e32 v9, vcc, s16, v2
	v_addc_co_u32_e32 v10, vcc, v3, v7, vcc
	s_and_saveexec_b64 s[14:15], s[4:5]
	s_cbranch_execz .LBB0_8
; %bb.7:
	v_mov_b32_e32 v12, s11
	v_mov_b32_e32 v11, s10
	;; [unrolled: 1-line block ×4, first 2 shown]
	global_store_dwordx4 v[9:10], v[11:14], off offset:8
.LBB0_8:
	s_or_b64 exec, exec, s[14:15]
	s_lshl_b64 s[10:11], s[12:13], 12
	v_mov_b32_e32 v7, s11
	v_add_co_u32_e32 v4, vcc, s10, v4
	v_addc_co_u32_e32 v13, vcc, v5, v7, vcc
	s_mov_b32 s12, 0
	v_lshlrev_b32_e32 v34, 6, v35
	v_mov_b32_e32 v5, 33
	v_mov_b32_e32 v7, v6
	;; [unrolled: 1-line block ×3, first 2 shown]
	v_readfirstlane_b32 s10, v4
	v_readfirstlane_b32 s11, v13
	v_add_co_u32_e32 v11, vcc, v4, v34
	s_mov_b32 s13, s12
	s_mov_b32 s14, s12
	s_mov_b32 s15, s12
	s_nop 0
	global_store_dwordx4 v34, v[5:8], s[10:11]
	v_mov_b32_e32 v4, s12
	v_addc_co_u32_e32 v12, vcc, 0, v13, vcc
	v_mov_b32_e32 v5, s13
	v_mov_b32_e32 v6, s14
	;; [unrolled: 1-line block ×3, first 2 shown]
	global_store_dwordx4 v34, v[4:7], s[10:11] offset:16
	global_store_dwordx4 v34, v[4:7], s[10:11] offset:32
	;; [unrolled: 1-line block ×3, first 2 shown]
	s_and_saveexec_b64 s[10:11], s[4:5]
	s_cbranch_execz .LBB0_16
; %bb.9:
	v_mov_b32_e32 v8, 0
	global_load_dwordx2 v[15:16], v8, s[6:7] offset:32 glc
	global_load_dwordx2 v[4:5], v8, s[6:7] offset:40
	v_mov_b32_e32 v13, s8
	v_mov_b32_e32 v14, s9
	s_waitcnt vmcnt(0)
	v_and_b32_e32 v4, s8, v4
	v_and_b32_e32 v5, s9, v5
	v_mul_lo_u32 v5, v5, 24
	v_mul_hi_u32 v6, v4, 24
	v_mul_lo_u32 v4, v4, 24
	v_add_u32_e32 v5, v6, v5
	v_add_co_u32_e32 v6, vcc, v2, v4
	v_addc_co_u32_e32 v7, vcc, v3, v5, vcc
	global_store_dwordx2 v[6:7], v[15:16], off
	s_waitcnt vmcnt(0)
	global_atomic_cmpswap_x2 v[4:5], v8, v[13:16], s[6:7] offset:32 glc
	s_waitcnt vmcnt(0)
	v_cmp_ne_u64_e32 vcc, v[4:5], v[15:16]
	s_and_saveexec_b64 s[12:13], vcc
	s_cbranch_execz .LBB0_12
; %bb.10:
	s_mov_b64 s[14:15], 0
.LBB0_11:                               ; =>This Inner Loop Header: Depth=1
	s_sleep 1
	global_store_dwordx2 v[6:7], v[4:5], off
	v_mov_b32_e32 v2, s8
	v_mov_b32_e32 v3, s9
	s_waitcnt vmcnt(0)
	global_atomic_cmpswap_x2 v[2:3], v8, v[2:5], s[6:7] offset:32 glc
	s_waitcnt vmcnt(0)
	v_cmp_eq_u64_e32 vcc, v[2:3], v[4:5]
	v_mov_b32_e32 v5, v3
	s_or_b64 s[14:15], vcc, s[14:15]
	v_mov_b32_e32 v4, v2
	s_andn2_b64 exec, exec, s[14:15]
	s_cbranch_execnz .LBB0_11
.LBB0_12:
	s_or_b64 exec, exec, s[12:13]
	v_mov_b32_e32 v5, 0
	global_load_dwordx2 v[2:3], v5, s[6:7] offset:16
	s_mov_b64 s[12:13], exec
	v_mbcnt_lo_u32_b32 v4, s12, 0
	v_mbcnt_hi_u32_b32 v4, s13, v4
	v_cmp_eq_u32_e32 vcc, 0, v4
	s_and_saveexec_b64 s[14:15], vcc
	s_cbranch_execz .LBB0_14
; %bb.13:
	s_bcnt1_i32_b64 s12, s[12:13]
	v_mov_b32_e32 v4, s12
	s_waitcnt vmcnt(0)
	global_atomic_add_x2 v[2:3], v[4:5], off offset:8
.LBB0_14:
	s_or_b64 exec, exec, s[14:15]
	s_waitcnt vmcnt(0)
	global_load_dwordx2 v[4:5], v[2:3], off offset:16
	s_waitcnt vmcnt(0)
	v_cmp_eq_u64_e32 vcc, 0, v[4:5]
	s_cbranch_vccnz .LBB0_16
; %bb.15:
	global_load_dword v2, v[2:3], off offset:24
	v_mov_b32_e32 v3, 0
	s_waitcnt vmcnt(0)
	global_store_dwordx2 v[4:5], v[2:3], off
	v_and_b32_e32 v2, 0xffffff, v2
	v_readfirstlane_b32 m0, v2
	s_sendmsg sendmsg(MSG_INTERRUPT)
.LBB0_16:
	s_or_b64 exec, exec, s[10:11]
	s_branch .LBB0_20
.LBB0_17:                               ;   in Loop: Header=BB0_20 Depth=1
	s_or_b64 exec, exec, s[10:11]
	v_readfirstlane_b32 s10, v2
	s_cmp_eq_u32 s10, 0
	s_cbranch_scc1 .LBB0_19
; %bb.18:                               ;   in Loop: Header=BB0_20 Depth=1
	s_sleep 1
	s_cbranch_execnz .LBB0_20
	s_branch .LBB0_22
.LBB0_19:
	s_branch .LBB0_22
.LBB0_20:                               ; =>This Inner Loop Header: Depth=1
	v_mov_b32_e32 v2, 1
	s_and_saveexec_b64 s[10:11], s[4:5]
	s_cbranch_execz .LBB0_17
; %bb.21:                               ;   in Loop: Header=BB0_20 Depth=1
	global_load_dword v2, v[9:10], off offset:20 glc
	s_waitcnt vmcnt(0)
	buffer_wbinvl1_vol
	v_and_b32_e32 v2, 1, v2
	s_branch .LBB0_17
.LBB0_22:
	global_load_dwordx2 v[6:7], v[11:12], off
	s_and_saveexec_b64 s[10:11], s[4:5]
	s_cbranch_execz .LBB0_25
; %bb.23:
	v_mov_b32_e32 v10, 0
	global_load_dwordx2 v[4:5], v10, s[6:7] offset:40
	global_load_dwordx2 v[11:12], v10, s[6:7] offset:24 glc
	global_load_dwordx2 v[8:9], v10, s[6:7]
	v_mov_b32_e32 v3, s9
	s_mov_b64 s[4:5], 0
	s_waitcnt vmcnt(2)
	v_add_co_u32_e32 v13, vcc, 1, v4
	v_addc_co_u32_e32 v14, vcc, 0, v5, vcc
	v_add_co_u32_e32 v2, vcc, s8, v13
	v_addc_co_u32_e32 v3, vcc, v14, v3, vcc
	v_cmp_eq_u64_e32 vcc, 0, v[2:3]
	v_cndmask_b32_e32 v3, v3, v14, vcc
	v_cndmask_b32_e32 v2, v2, v13, vcc
	v_and_b32_e32 v5, v3, v5
	v_and_b32_e32 v4, v2, v4
	v_mul_lo_u32 v5, v5, 24
	v_mul_hi_u32 v13, v4, 24
	v_mul_lo_u32 v14, v4, 24
	s_waitcnt vmcnt(1)
	v_mov_b32_e32 v4, v11
	v_add_u32_e32 v5, v13, v5
	s_waitcnt vmcnt(0)
	v_add_co_u32_e32 v8, vcc, v8, v14
	v_addc_co_u32_e32 v9, vcc, v9, v5, vcc
	global_store_dwordx2 v[8:9], v[11:12], off
	v_mov_b32_e32 v5, v12
	s_waitcnt vmcnt(0)
	global_atomic_cmpswap_x2 v[4:5], v10, v[2:5], s[6:7] offset:24 glc
	s_waitcnt vmcnt(0)
	v_cmp_ne_u64_e32 vcc, v[4:5], v[11:12]
	s_and_b64 exec, exec, vcc
	s_cbranch_execz .LBB0_25
.LBB0_24:                               ; =>This Inner Loop Header: Depth=1
	s_sleep 1
	global_store_dwordx2 v[8:9], v[4:5], off
	s_waitcnt vmcnt(0)
	global_atomic_cmpswap_x2 v[11:12], v10, v[2:5], s[6:7] offset:24 glc
	s_waitcnt vmcnt(0)
	v_cmp_eq_u64_e32 vcc, v[11:12], v[4:5]
	v_mov_b32_e32 v4, v11
	s_or_b64 s[4:5], vcc, s[4:5]
	v_mov_b32_e32 v5, v12
	s_andn2_b64 exec, exec, s[4:5]
	s_cbranch_execnz .LBB0_24
.LBB0_25:
	s_or_b64 exec, exec, s[10:11]
	s_getpc_b64 s[8:9]
	s_add_u32 s8, s8, .str.5@rel32@lo+4
	s_addc_u32 s9, s9, .str.5@rel32@hi+12
	s_cmp_lg_u64 s[8:9], 0
	s_cbranch_scc0 .LBB0_110
; %bb.26:
	s_waitcnt vmcnt(0)
	v_and_b32_e32 v31, 2, v6
	v_mov_b32_e32 v28, 0
	v_and_b32_e32 v2, -3, v6
	v_mov_b32_e32 v3, v7
	s_mov_b64 s[10:11], 3
	v_mov_b32_e32 v10, 2
	v_mov_b32_e32 v11, 1
	s_branch .LBB0_28
.LBB0_27:                               ;   in Loop: Header=BB0_28 Depth=1
	s_or_b64 exec, exec, s[16:17]
	s_sub_u32 s10, s10, s12
	s_subb_u32 s11, s11, s13
	s_add_u32 s8, s8, s12
	s_addc_u32 s9, s9, s13
	s_cmp_lg_u64 s[10:11], 0
	s_cbranch_scc0 .LBB0_109
.LBB0_28:                               ; =>This Loop Header: Depth=1
                                        ;     Child Loop BB0_31 Depth 2
                                        ;     Child Loop BB0_38 Depth 2
	;; [unrolled: 1-line block ×11, first 2 shown]
	v_cmp_lt_u64_e64 s[4:5], s[10:11], 56
	v_cmp_gt_u64_e64 s[14:15], s[10:11], 7
	s_and_b64 s[4:5], s[4:5], exec
	s_cselect_b32 s13, s11, 0
	s_cselect_b32 s12, s10, 56
	s_and_b64 vcc, exec, s[14:15]
	s_cbranch_vccnz .LBB0_33
; %bb.29:                               ;   in Loop: Header=BB0_28 Depth=1
	s_waitcnt vmcnt(0)
	v_mov_b32_e32 v4, 0
	s_cmp_eq_u64 s[10:11], 0
	v_mov_b32_e32 v5, 0
	s_mov_b64 s[4:5], 0
	s_cbranch_scc1 .LBB0_32
; %bb.30:                               ;   in Loop: Header=BB0_28 Depth=1
	v_mov_b32_e32 v4, 0
	s_lshl_b64 s[14:15], s[12:13], 3
	s_mov_b64 s[16:17], 0
	v_mov_b32_e32 v5, 0
	s_mov_b64 s[18:19], s[8:9]
.LBB0_31:                               ;   Parent Loop BB0_28 Depth=1
                                        ; =>  This Inner Loop Header: Depth=2
	global_load_ubyte v8, v28, s[18:19]
	s_waitcnt vmcnt(0)
	v_and_b32_e32 v27, 0xffff, v8
	v_lshlrev_b64 v[8:9], s16, v[27:28]
	s_add_u32 s16, s16, 8
	s_addc_u32 s17, s17, 0
	s_add_u32 s18, s18, 1
	s_addc_u32 s19, s19, 0
	v_or_b32_e32 v4, v8, v4
	s_cmp_lg_u32 s14, s16
	v_or_b32_e32 v5, v9, v5
	s_cbranch_scc1 .LBB0_31
.LBB0_32:                               ;   in Loop: Header=BB0_28 Depth=1
	s_mov_b32 s18, 0
	s_andn2_b64 vcc, exec, s[4:5]
	s_mov_b64 s[4:5], s[8:9]
	s_cbranch_vccz .LBB0_34
	s_branch .LBB0_35
.LBB0_33:                               ;   in Loop: Header=BB0_28 Depth=1
                                        ; implicit-def: $vgpr4_vgpr5
                                        ; implicit-def: $sgpr18
	s_mov_b64 s[4:5], s[8:9]
.LBB0_34:                               ;   in Loop: Header=BB0_28 Depth=1
	global_load_dwordx2 v[4:5], v28, s[8:9]
	s_add_i32 s18, s12, -8
	s_add_u32 s4, s8, 8
	s_addc_u32 s5, s9, 0
.LBB0_35:                               ;   in Loop: Header=BB0_28 Depth=1
	s_cmp_gt_u32 s18, 7
	s_cbranch_scc1 .LBB0_39
; %bb.36:                               ;   in Loop: Header=BB0_28 Depth=1
	s_cmp_eq_u32 s18, 0
	s_cbranch_scc1 .LBB0_40
; %bb.37:                               ;   in Loop: Header=BB0_28 Depth=1
	v_mov_b32_e32 v12, 0
	s_mov_b64 s[14:15], 0
	v_mov_b32_e32 v13, 0
	s_mov_b64 s[16:17], 0
.LBB0_38:                               ;   Parent Loop BB0_28 Depth=1
                                        ; =>  This Inner Loop Header: Depth=2
	s_add_u32 s20, s4, s16
	s_addc_u32 s21, s5, s17
	global_load_ubyte v8, v28, s[20:21]
	s_add_u32 s16, s16, 1
	s_addc_u32 s17, s17, 0
	s_waitcnt vmcnt(0)
	v_and_b32_e32 v27, 0xffff, v8
	v_lshlrev_b64 v[8:9], s14, v[27:28]
	s_add_u32 s14, s14, 8
	s_addc_u32 s15, s15, 0
	v_or_b32_e32 v12, v8, v12
	s_cmp_lg_u32 s18, s16
	v_or_b32_e32 v13, v9, v13
	s_cbranch_scc1 .LBB0_38
	s_branch .LBB0_41
.LBB0_39:                               ;   in Loop: Header=BB0_28 Depth=1
                                        ; implicit-def: $vgpr12_vgpr13
                                        ; implicit-def: $sgpr19
	s_branch .LBB0_42
.LBB0_40:                               ;   in Loop: Header=BB0_28 Depth=1
	v_mov_b32_e32 v12, 0
	v_mov_b32_e32 v13, 0
.LBB0_41:                               ;   in Loop: Header=BB0_28 Depth=1
	s_mov_b32 s19, 0
	s_cbranch_execnz .LBB0_43
.LBB0_42:                               ;   in Loop: Header=BB0_28 Depth=1
	global_load_dwordx2 v[12:13], v28, s[4:5]
	s_add_i32 s19, s18, -8
	s_add_u32 s4, s4, 8
	s_addc_u32 s5, s5, 0
.LBB0_43:                               ;   in Loop: Header=BB0_28 Depth=1
	s_cmp_gt_u32 s19, 7
	s_cbranch_scc1 .LBB0_47
; %bb.44:                               ;   in Loop: Header=BB0_28 Depth=1
	s_cmp_eq_u32 s19, 0
	s_cbranch_scc1 .LBB0_48
; %bb.45:                               ;   in Loop: Header=BB0_28 Depth=1
	v_mov_b32_e32 v14, 0
	s_mov_b64 s[14:15], 0
	v_mov_b32_e32 v15, 0
	s_mov_b64 s[16:17], 0
.LBB0_46:                               ;   Parent Loop BB0_28 Depth=1
                                        ; =>  This Inner Loop Header: Depth=2
	s_add_u32 s20, s4, s16
	s_addc_u32 s21, s5, s17
	global_load_ubyte v8, v28, s[20:21]
	s_add_u32 s16, s16, 1
	s_addc_u32 s17, s17, 0
	s_waitcnt vmcnt(0)
	v_and_b32_e32 v27, 0xffff, v8
	v_lshlrev_b64 v[8:9], s14, v[27:28]
	s_add_u32 s14, s14, 8
	s_addc_u32 s15, s15, 0
	v_or_b32_e32 v14, v8, v14
	s_cmp_lg_u32 s19, s16
	v_or_b32_e32 v15, v9, v15
	s_cbranch_scc1 .LBB0_46
	s_branch .LBB0_49
.LBB0_47:                               ;   in Loop: Header=BB0_28 Depth=1
                                        ; implicit-def: $sgpr18
	s_branch .LBB0_50
.LBB0_48:                               ;   in Loop: Header=BB0_28 Depth=1
	v_mov_b32_e32 v14, 0
	v_mov_b32_e32 v15, 0
.LBB0_49:                               ;   in Loop: Header=BB0_28 Depth=1
	s_mov_b32 s18, 0
	s_cbranch_execnz .LBB0_51
.LBB0_50:                               ;   in Loop: Header=BB0_28 Depth=1
	global_load_dwordx2 v[14:15], v28, s[4:5]
	s_add_i32 s18, s19, -8
	s_add_u32 s4, s4, 8
	s_addc_u32 s5, s5, 0
.LBB0_51:                               ;   in Loop: Header=BB0_28 Depth=1
	s_cmp_gt_u32 s18, 7
	s_cbranch_scc1 .LBB0_55
; %bb.52:                               ;   in Loop: Header=BB0_28 Depth=1
	s_cmp_eq_u32 s18, 0
	s_cbranch_scc1 .LBB0_56
; %bb.53:                               ;   in Loop: Header=BB0_28 Depth=1
	v_mov_b32_e32 v16, 0
	s_mov_b64 s[14:15], 0
	v_mov_b32_e32 v17, 0
	s_mov_b64 s[16:17], 0
.LBB0_54:                               ;   Parent Loop BB0_28 Depth=1
                                        ; =>  This Inner Loop Header: Depth=2
	s_add_u32 s20, s4, s16
	s_addc_u32 s21, s5, s17
	global_load_ubyte v8, v28, s[20:21]
	s_add_u32 s16, s16, 1
	s_addc_u32 s17, s17, 0
	s_waitcnt vmcnt(0)
	v_and_b32_e32 v27, 0xffff, v8
	v_lshlrev_b64 v[8:9], s14, v[27:28]
	s_add_u32 s14, s14, 8
	s_addc_u32 s15, s15, 0
	v_or_b32_e32 v16, v8, v16
	s_cmp_lg_u32 s18, s16
	v_or_b32_e32 v17, v9, v17
	s_cbranch_scc1 .LBB0_54
	s_branch .LBB0_57
.LBB0_55:                               ;   in Loop: Header=BB0_28 Depth=1
                                        ; implicit-def: $vgpr16_vgpr17
                                        ; implicit-def: $sgpr19
	s_branch .LBB0_58
.LBB0_56:                               ;   in Loop: Header=BB0_28 Depth=1
	v_mov_b32_e32 v16, 0
	v_mov_b32_e32 v17, 0
.LBB0_57:                               ;   in Loop: Header=BB0_28 Depth=1
	s_mov_b32 s19, 0
	s_cbranch_execnz .LBB0_59
.LBB0_58:                               ;   in Loop: Header=BB0_28 Depth=1
	global_load_dwordx2 v[16:17], v28, s[4:5]
	s_add_i32 s19, s18, -8
	s_add_u32 s4, s4, 8
	s_addc_u32 s5, s5, 0
.LBB0_59:                               ;   in Loop: Header=BB0_28 Depth=1
	s_cmp_gt_u32 s19, 7
	s_cbranch_scc1 .LBB0_63
; %bb.60:                               ;   in Loop: Header=BB0_28 Depth=1
	s_cmp_eq_u32 s19, 0
	s_cbranch_scc1 .LBB0_64
; %bb.61:                               ;   in Loop: Header=BB0_28 Depth=1
	v_mov_b32_e32 v18, 0
	s_mov_b64 s[14:15], 0
	v_mov_b32_e32 v19, 0
	s_mov_b64 s[16:17], 0
.LBB0_62:                               ;   Parent Loop BB0_28 Depth=1
                                        ; =>  This Inner Loop Header: Depth=2
	s_add_u32 s20, s4, s16
	s_addc_u32 s21, s5, s17
	global_load_ubyte v8, v28, s[20:21]
	s_add_u32 s16, s16, 1
	s_addc_u32 s17, s17, 0
	s_waitcnt vmcnt(0)
	v_and_b32_e32 v27, 0xffff, v8
	v_lshlrev_b64 v[8:9], s14, v[27:28]
	s_add_u32 s14, s14, 8
	s_addc_u32 s15, s15, 0
	v_or_b32_e32 v18, v8, v18
	s_cmp_lg_u32 s19, s16
	v_or_b32_e32 v19, v9, v19
	s_cbranch_scc1 .LBB0_62
	s_branch .LBB0_65
.LBB0_63:                               ;   in Loop: Header=BB0_28 Depth=1
                                        ; implicit-def: $sgpr18
	s_branch .LBB0_66
.LBB0_64:                               ;   in Loop: Header=BB0_28 Depth=1
	v_mov_b32_e32 v18, 0
	v_mov_b32_e32 v19, 0
.LBB0_65:                               ;   in Loop: Header=BB0_28 Depth=1
	s_mov_b32 s18, 0
	s_cbranch_execnz .LBB0_67
.LBB0_66:                               ;   in Loop: Header=BB0_28 Depth=1
	global_load_dwordx2 v[18:19], v28, s[4:5]
	s_add_i32 s18, s19, -8
	s_add_u32 s4, s4, 8
	s_addc_u32 s5, s5, 0
.LBB0_67:                               ;   in Loop: Header=BB0_28 Depth=1
	s_cmp_gt_u32 s18, 7
	s_cbranch_scc1 .LBB0_71
; %bb.68:                               ;   in Loop: Header=BB0_28 Depth=1
	s_cmp_eq_u32 s18, 0
	s_cbranch_scc1 .LBB0_72
; %bb.69:                               ;   in Loop: Header=BB0_28 Depth=1
	v_mov_b32_e32 v20, 0
	s_mov_b64 s[14:15], 0
	v_mov_b32_e32 v21, 0
	s_mov_b64 s[16:17], 0
.LBB0_70:                               ;   Parent Loop BB0_28 Depth=1
                                        ; =>  This Inner Loop Header: Depth=2
	s_add_u32 s20, s4, s16
	s_addc_u32 s21, s5, s17
	global_load_ubyte v8, v28, s[20:21]
	s_add_u32 s16, s16, 1
	s_addc_u32 s17, s17, 0
	s_waitcnt vmcnt(0)
	v_and_b32_e32 v27, 0xffff, v8
	v_lshlrev_b64 v[8:9], s14, v[27:28]
	s_add_u32 s14, s14, 8
	s_addc_u32 s15, s15, 0
	v_or_b32_e32 v20, v8, v20
	s_cmp_lg_u32 s18, s16
	v_or_b32_e32 v21, v9, v21
	s_cbranch_scc1 .LBB0_70
	s_branch .LBB0_73
.LBB0_71:                               ;   in Loop: Header=BB0_28 Depth=1
                                        ; implicit-def: $vgpr20_vgpr21
                                        ; implicit-def: $sgpr19
	s_branch .LBB0_74
.LBB0_72:                               ;   in Loop: Header=BB0_28 Depth=1
	v_mov_b32_e32 v20, 0
	v_mov_b32_e32 v21, 0
.LBB0_73:                               ;   in Loop: Header=BB0_28 Depth=1
	s_mov_b32 s19, 0
	s_cbranch_execnz .LBB0_75
.LBB0_74:                               ;   in Loop: Header=BB0_28 Depth=1
	global_load_dwordx2 v[20:21], v28, s[4:5]
	s_add_i32 s19, s18, -8
	s_add_u32 s4, s4, 8
	s_addc_u32 s5, s5, 0
.LBB0_75:                               ;   in Loop: Header=BB0_28 Depth=1
	s_cmp_gt_u32 s19, 7
	s_cbranch_scc1 .LBB0_79
; %bb.76:                               ;   in Loop: Header=BB0_28 Depth=1
	s_cmp_eq_u32 s19, 0
	s_cbranch_scc1 .LBB0_80
; %bb.77:                               ;   in Loop: Header=BB0_28 Depth=1
	v_mov_b32_e32 v22, 0
	s_mov_b64 s[14:15], 0
	v_mov_b32_e32 v23, 0
	s_mov_b64 s[16:17], s[4:5]
.LBB0_78:                               ;   Parent Loop BB0_28 Depth=1
                                        ; =>  This Inner Loop Header: Depth=2
	global_load_ubyte v8, v28, s[16:17]
	s_add_i32 s19, s19, -1
	s_waitcnt vmcnt(0)
	v_and_b32_e32 v27, 0xffff, v8
	v_lshlrev_b64 v[8:9], s14, v[27:28]
	s_add_u32 s14, s14, 8
	s_addc_u32 s15, s15, 0
	s_add_u32 s16, s16, 1
	s_addc_u32 s17, s17, 0
	v_or_b32_e32 v22, v8, v22
	s_cmp_lg_u32 s19, 0
	v_or_b32_e32 v23, v9, v23
	s_cbranch_scc1 .LBB0_78
	s_branch .LBB0_81
.LBB0_79:                               ;   in Loop: Header=BB0_28 Depth=1
	s_branch .LBB0_82
.LBB0_80:                               ;   in Loop: Header=BB0_28 Depth=1
	v_mov_b32_e32 v22, 0
	v_mov_b32_e32 v23, 0
.LBB0_81:                               ;   in Loop: Header=BB0_28 Depth=1
	s_cbranch_execnz .LBB0_83
.LBB0_82:                               ;   in Loop: Header=BB0_28 Depth=1
	global_load_dwordx2 v[22:23], v28, s[4:5]
.LBB0_83:                               ;   in Loop: Header=BB0_28 Depth=1
	v_readfirstlane_b32 s4, v35
	v_mov_b32_e32 v8, 0
	v_mov_b32_e32 v9, 0
	v_cmp_eq_u32_e64 s[4:5], s4, v35
	s_and_saveexec_b64 s[14:15], s[4:5]
	s_cbranch_execz .LBB0_89
; %bb.84:                               ;   in Loop: Header=BB0_28 Depth=1
	global_load_dwordx2 v[26:27], v28, s[6:7] offset:24 glc
	s_waitcnt vmcnt(0)
	buffer_wbinvl1_vol
	global_load_dwordx2 v[8:9], v28, s[6:7] offset:40
	global_load_dwordx2 v[24:25], v28, s[6:7]
	s_waitcnt vmcnt(1)
	v_and_b32_e32 v8, v8, v26
	v_and_b32_e32 v9, v9, v27
	v_mul_lo_u32 v9, v9, 24
	v_mul_hi_u32 v29, v8, 24
	v_mul_lo_u32 v8, v8, 24
	v_add_u32_e32 v9, v29, v9
	s_waitcnt vmcnt(0)
	v_add_co_u32_e32 v8, vcc, v24, v8
	v_addc_co_u32_e32 v9, vcc, v25, v9, vcc
	global_load_dwordx2 v[24:25], v[8:9], off glc
	s_waitcnt vmcnt(0)
	global_atomic_cmpswap_x2 v[8:9], v28, v[24:27], s[6:7] offset:24 glc
	s_waitcnt vmcnt(0)
	buffer_wbinvl1_vol
	v_cmp_ne_u64_e32 vcc, v[8:9], v[26:27]
	s_and_saveexec_b64 s[16:17], vcc
	s_cbranch_execz .LBB0_88
; %bb.85:                               ;   in Loop: Header=BB0_28 Depth=1
	s_mov_b64 s[18:19], 0
.LBB0_86:                               ;   Parent Loop BB0_28 Depth=1
                                        ; =>  This Inner Loop Header: Depth=2
	s_sleep 1
	global_load_dwordx2 v[24:25], v28, s[6:7] offset:40
	global_load_dwordx2 v[29:30], v28, s[6:7]
	v_mov_b32_e32 v27, v9
	v_mov_b32_e32 v26, v8
	s_waitcnt vmcnt(1)
	v_and_b32_e32 v8, v24, v26
	s_waitcnt vmcnt(0)
	v_mad_u64_u32 v[8:9], s[20:21], v8, 24, v[29:30]
	v_and_b32_e32 v24, v25, v27
	v_mad_u64_u32 v[24:25], s[20:21], v24, 24, v[9:10]
	v_mov_b32_e32 v9, v24
	global_load_dwordx2 v[24:25], v[8:9], off glc
	s_waitcnt vmcnt(0)
	global_atomic_cmpswap_x2 v[8:9], v28, v[24:27], s[6:7] offset:24 glc
	s_waitcnt vmcnt(0)
	buffer_wbinvl1_vol
	v_cmp_eq_u64_e32 vcc, v[8:9], v[26:27]
	s_or_b64 s[18:19], vcc, s[18:19]
	s_andn2_b64 exec, exec, s[18:19]
	s_cbranch_execnz .LBB0_86
; %bb.87:                               ;   in Loop: Header=BB0_28 Depth=1
	s_or_b64 exec, exec, s[18:19]
.LBB0_88:                               ;   in Loop: Header=BB0_28 Depth=1
	s_or_b64 exec, exec, s[16:17]
.LBB0_89:                               ;   in Loop: Header=BB0_28 Depth=1
	s_or_b64 exec, exec, s[14:15]
	global_load_dwordx2 v[29:30], v28, s[6:7] offset:40
	global_load_dwordx4 v[24:27], v28, s[6:7]
	v_readfirstlane_b32 s14, v8
	v_readfirstlane_b32 s15, v9
	s_mov_b64 s[16:17], exec
	s_waitcnt vmcnt(1)
	v_readfirstlane_b32 s18, v29
	v_readfirstlane_b32 s19, v30
	s_and_b64 s[18:19], s[14:15], s[18:19]
	s_mul_i32 s20, s19, 24
	s_mul_hi_u32 s21, s18, 24
	s_mul_i32 s22, s18, 24
	s_add_i32 s20, s21, s20
	v_mov_b32_e32 v8, s20
	s_waitcnt vmcnt(0)
	v_add_co_u32_e32 v29, vcc, s22, v24
	v_addc_co_u32_e32 v30, vcc, v25, v8, vcc
	s_and_saveexec_b64 s[20:21], s[4:5]
	s_cbranch_execz .LBB0_91
; %bb.90:                               ;   in Loop: Header=BB0_28 Depth=1
	v_mov_b32_e32 v8, s16
	v_mov_b32_e32 v9, s17
	global_store_dwordx4 v[29:30], v[8:11], off offset:8
.LBB0_91:                               ;   in Loop: Header=BB0_28 Depth=1
	s_or_b64 exec, exec, s[20:21]
	s_lshl_b64 s[16:17], s[18:19], 12
	v_mov_b32_e32 v8, s17
	v_add_co_u32_e32 v26, vcc, s16, v26
	v_addc_co_u32_e32 v32, vcc, v27, v8, vcc
	v_cmp_gt_u64_e64 vcc, s[10:11], 56
	v_or_b32_e32 v9, v2, v31
	s_lshl_b32 s16, s12, 2
	v_cndmask_b32_e32 v2, v9, v2, vcc
	s_add_i32 s16, s16, 28
	v_or_b32_e32 v8, 0, v3
	s_and_b32 s16, s16, 0x1e0
	v_and_b32_e32 v2, 0xffffff1f, v2
	v_cndmask_b32_e32 v3, v8, v3, vcc
	v_or_b32_e32 v2, s16, v2
	v_readfirstlane_b32 s16, v26
	v_readfirstlane_b32 s17, v32
	s_nop 4
	global_store_dwordx4 v34, v[2:5], s[16:17]
	global_store_dwordx4 v34, v[12:15], s[16:17] offset:16
	global_store_dwordx4 v34, v[16:19], s[16:17] offset:32
	;; [unrolled: 1-line block ×3, first 2 shown]
	s_and_saveexec_b64 s[16:17], s[4:5]
	s_cbranch_execz .LBB0_99
; %bb.92:                               ;   in Loop: Header=BB0_28 Depth=1
	global_load_dwordx2 v[14:15], v28, s[6:7] offset:32 glc
	global_load_dwordx2 v[2:3], v28, s[6:7] offset:40
	v_mov_b32_e32 v12, s14
	v_mov_b32_e32 v13, s15
	s_waitcnt vmcnt(0)
	v_readfirstlane_b32 s18, v2
	v_readfirstlane_b32 s19, v3
	s_and_b64 s[18:19], s[18:19], s[14:15]
	s_mul_i32 s19, s19, 24
	s_mul_hi_u32 s20, s18, 24
	s_mul_i32 s18, s18, 24
	s_add_i32 s19, s20, s19
	v_mov_b32_e32 v2, s19
	v_add_co_u32_e32 v8, vcc, s18, v24
	v_addc_co_u32_e32 v9, vcc, v25, v2, vcc
	global_store_dwordx2 v[8:9], v[14:15], off
	s_waitcnt vmcnt(0)
	global_atomic_cmpswap_x2 v[4:5], v28, v[12:15], s[6:7] offset:32 glc
	s_waitcnt vmcnt(0)
	v_cmp_ne_u64_e32 vcc, v[4:5], v[14:15]
	s_and_saveexec_b64 s[18:19], vcc
	s_cbranch_execz .LBB0_95
; %bb.93:                               ;   in Loop: Header=BB0_28 Depth=1
	s_mov_b64 s[20:21], 0
.LBB0_94:                               ;   Parent Loop BB0_28 Depth=1
                                        ; =>  This Inner Loop Header: Depth=2
	s_sleep 1
	global_store_dwordx2 v[8:9], v[4:5], off
	v_mov_b32_e32 v2, s14
	v_mov_b32_e32 v3, s15
	s_waitcnt vmcnt(0)
	global_atomic_cmpswap_x2 v[2:3], v28, v[2:5], s[6:7] offset:32 glc
	s_waitcnt vmcnt(0)
	v_cmp_eq_u64_e32 vcc, v[2:3], v[4:5]
	v_mov_b32_e32 v5, v3
	s_or_b64 s[20:21], vcc, s[20:21]
	v_mov_b32_e32 v4, v2
	s_andn2_b64 exec, exec, s[20:21]
	s_cbranch_execnz .LBB0_94
.LBB0_95:                               ;   in Loop: Header=BB0_28 Depth=1
	s_or_b64 exec, exec, s[18:19]
	global_load_dwordx2 v[2:3], v28, s[6:7] offset:16
	s_mov_b64 s[20:21], exec
	v_mbcnt_lo_u32_b32 v4, s20, 0
	v_mbcnt_hi_u32_b32 v4, s21, v4
	v_cmp_eq_u32_e32 vcc, 0, v4
	s_and_saveexec_b64 s[18:19], vcc
	s_cbranch_execz .LBB0_97
; %bb.96:                               ;   in Loop: Header=BB0_28 Depth=1
	s_bcnt1_i32_b64 s20, s[20:21]
	v_mov_b32_e32 v27, s20
	s_waitcnt vmcnt(0)
	global_atomic_add_x2 v[2:3], v[27:28], off offset:8
.LBB0_97:                               ;   in Loop: Header=BB0_28 Depth=1
	s_or_b64 exec, exec, s[18:19]
	s_waitcnt vmcnt(0)
	global_load_dwordx2 v[4:5], v[2:3], off offset:16
	s_waitcnt vmcnt(0)
	v_cmp_eq_u64_e32 vcc, 0, v[4:5]
	s_cbranch_vccnz .LBB0_99
; %bb.98:                               ;   in Loop: Header=BB0_28 Depth=1
	global_load_dword v27, v[2:3], off offset:24
	s_waitcnt vmcnt(0)
	v_and_b32_e32 v2, 0xffffff, v27
	v_readfirstlane_b32 m0, v2
	global_store_dwordx2 v[4:5], v[27:28], off
	s_sendmsg sendmsg(MSG_INTERRUPT)
.LBB0_99:                               ;   in Loop: Header=BB0_28 Depth=1
	s_or_b64 exec, exec, s[16:17]
	v_add_co_u32_e32 v2, vcc, v26, v34
	v_addc_co_u32_e32 v3, vcc, 0, v32, vcc
	s_branch .LBB0_103
.LBB0_100:                              ;   in Loop: Header=BB0_103 Depth=2
	s_or_b64 exec, exec, s[16:17]
	v_readfirstlane_b32 s16, v4
	s_cmp_eq_u32 s16, 0
	s_cbranch_scc1 .LBB0_102
; %bb.101:                              ;   in Loop: Header=BB0_103 Depth=2
	s_sleep 1
	s_cbranch_execnz .LBB0_103
	s_branch .LBB0_105
.LBB0_102:                              ;   in Loop: Header=BB0_28 Depth=1
	s_branch .LBB0_105
.LBB0_103:                              ;   Parent Loop BB0_28 Depth=1
                                        ; =>  This Inner Loop Header: Depth=2
	v_mov_b32_e32 v4, 1
	s_and_saveexec_b64 s[16:17], s[4:5]
	s_cbranch_execz .LBB0_100
; %bb.104:                              ;   in Loop: Header=BB0_103 Depth=2
	global_load_dword v4, v[29:30], off offset:20 glc
	s_waitcnt vmcnt(0)
	buffer_wbinvl1_vol
	v_and_b32_e32 v4, 1, v4
	s_branch .LBB0_100
.LBB0_105:                              ;   in Loop: Header=BB0_28 Depth=1
	global_load_dwordx4 v[2:5], v[2:3], off
	s_and_saveexec_b64 s[16:17], s[4:5]
	s_cbranch_execz .LBB0_27
; %bb.106:                              ;   in Loop: Header=BB0_28 Depth=1
	global_load_dwordx2 v[4:5], v28, s[6:7] offset:40
	global_load_dwordx2 v[8:9], v28, s[6:7] offset:24 glc
	global_load_dwordx2 v[15:16], v28, s[6:7]
	v_mov_b32_e32 v13, s15
	s_waitcnt vmcnt(2)
	v_add_co_u32_e32 v14, vcc, 1, v4
	v_addc_co_u32_e32 v17, vcc, 0, v5, vcc
	v_add_co_u32_e32 v12, vcc, s14, v14
	v_addc_co_u32_e32 v13, vcc, v17, v13, vcc
	v_cmp_eq_u64_e32 vcc, 0, v[12:13]
	v_cndmask_b32_e32 v13, v13, v17, vcc
	v_cndmask_b32_e32 v12, v12, v14, vcc
	v_and_b32_e32 v5, v13, v5
	v_and_b32_e32 v4, v12, v4
	v_mul_lo_u32 v5, v5, 24
	v_mul_hi_u32 v17, v4, 24
	v_mul_lo_u32 v4, v4, 24
	s_waitcnt vmcnt(1)
	v_mov_b32_e32 v14, v8
	v_add_u32_e32 v5, v17, v5
	s_waitcnt vmcnt(0)
	v_add_co_u32_e32 v4, vcc, v15, v4
	v_addc_co_u32_e32 v5, vcc, v16, v5, vcc
	global_store_dwordx2 v[4:5], v[8:9], off
	v_mov_b32_e32 v15, v9
	s_waitcnt vmcnt(0)
	global_atomic_cmpswap_x2 v[14:15], v28, v[12:15], s[6:7] offset:24 glc
	s_waitcnt vmcnt(0)
	v_cmp_ne_u64_e32 vcc, v[14:15], v[8:9]
	s_and_b64 exec, exec, vcc
	s_cbranch_execz .LBB0_27
; %bb.107:                              ;   in Loop: Header=BB0_28 Depth=1
	s_mov_b64 s[4:5], 0
.LBB0_108:                              ;   Parent Loop BB0_28 Depth=1
                                        ; =>  This Inner Loop Header: Depth=2
	s_sleep 1
	global_store_dwordx2 v[4:5], v[14:15], off
	s_waitcnt vmcnt(0)
	global_atomic_cmpswap_x2 v[8:9], v28, v[12:15], s[6:7] offset:24 glc
	s_waitcnt vmcnt(0)
	v_cmp_eq_u64_e32 vcc, v[8:9], v[14:15]
	v_mov_b32_e32 v15, v9
	s_or_b64 s[4:5], vcc, s[4:5]
	v_mov_b32_e32 v14, v8
	s_andn2_b64 exec, exec, s[4:5]
	s_cbranch_execnz .LBB0_108
	s_branch .LBB0_27
.LBB0_109:
	s_branch .LBB0_137
.LBB0_110:
                                        ; implicit-def: $vgpr2_vgpr3
	s_cbranch_execz .LBB0_137
; %bb.111:
	v_readfirstlane_b32 s4, v35
	v_mov_b32_e32 v9, 0
	v_mov_b32_e32 v10, 0
	v_cmp_eq_u32_e64 s[4:5], s4, v35
	s_and_saveexec_b64 s[8:9], s[4:5]
	s_cbranch_execz .LBB0_117
; %bb.112:
	s_waitcnt vmcnt(0)
	v_mov_b32_e32 v2, 0
	global_load_dwordx2 v[11:12], v2, s[6:7] offset:24 glc
	s_waitcnt vmcnt(0)
	buffer_wbinvl1_vol
	global_load_dwordx2 v[3:4], v2, s[6:7] offset:40
	global_load_dwordx2 v[8:9], v2, s[6:7]
	s_waitcnt vmcnt(1)
	v_and_b32_e32 v3, v3, v11
	v_and_b32_e32 v4, v4, v12
	v_mul_lo_u32 v4, v4, 24
	v_mul_hi_u32 v5, v3, 24
	v_mul_lo_u32 v3, v3, 24
	v_add_u32_e32 v4, v5, v4
	s_waitcnt vmcnt(0)
	v_add_co_u32_e32 v3, vcc, v8, v3
	v_addc_co_u32_e32 v4, vcc, v9, v4, vcc
	global_load_dwordx2 v[9:10], v[3:4], off glc
	s_waitcnt vmcnt(0)
	global_atomic_cmpswap_x2 v[9:10], v2, v[9:12], s[6:7] offset:24 glc
	s_waitcnt vmcnt(0)
	buffer_wbinvl1_vol
	v_cmp_ne_u64_e32 vcc, v[9:10], v[11:12]
	s_and_saveexec_b64 s[10:11], vcc
	s_cbranch_execz .LBB0_116
; %bb.113:
	s_mov_b64 s[12:13], 0
.LBB0_114:                              ; =>This Inner Loop Header: Depth=1
	s_sleep 1
	global_load_dwordx2 v[3:4], v2, s[6:7] offset:40
	global_load_dwordx2 v[13:14], v2, s[6:7]
	v_mov_b32_e32 v12, v10
	v_mov_b32_e32 v11, v9
	s_waitcnt vmcnt(1)
	v_and_b32_e32 v3, v3, v11
	s_waitcnt vmcnt(0)
	v_mad_u64_u32 v[8:9], s[14:15], v3, 24, v[13:14]
	v_and_b32_e32 v4, v4, v12
	v_mov_b32_e32 v3, v9
	v_mad_u64_u32 v[3:4], s[14:15], v4, 24, v[3:4]
	v_mov_b32_e32 v9, v3
	global_load_dwordx2 v[9:10], v[8:9], off glc
	s_waitcnt vmcnt(0)
	global_atomic_cmpswap_x2 v[9:10], v2, v[9:12], s[6:7] offset:24 glc
	s_waitcnt vmcnt(0)
	buffer_wbinvl1_vol
	v_cmp_eq_u64_e32 vcc, v[9:10], v[11:12]
	s_or_b64 s[12:13], vcc, s[12:13]
	s_andn2_b64 exec, exec, s[12:13]
	s_cbranch_execnz .LBB0_114
; %bb.115:
	s_or_b64 exec, exec, s[12:13]
.LBB0_116:
	s_or_b64 exec, exec, s[10:11]
.LBB0_117:
	s_or_b64 exec, exec, s[8:9]
	v_mov_b32_e32 v8, 0
	global_load_dwordx2 v[11:12], v8, s[6:7] offset:40
	global_load_dwordx4 v[2:5], v8, s[6:7]
	v_readfirstlane_b32 s8, v9
	v_readfirstlane_b32 s9, v10
	s_mov_b64 s[10:11], exec
	s_waitcnt vmcnt(1)
	v_readfirstlane_b32 s12, v11
	v_readfirstlane_b32 s13, v12
	s_and_b64 s[12:13], s[8:9], s[12:13]
	s_mul_i32 s14, s13, 24
	s_mul_hi_u32 s15, s12, 24
	s_mul_i32 s16, s12, 24
	s_add_i32 s14, s15, s14
	v_mov_b32_e32 v9, s14
	s_waitcnt vmcnt(0)
	v_add_co_u32_e32 v10, vcc, s16, v2
	v_addc_co_u32_e32 v11, vcc, v3, v9, vcc
	s_and_saveexec_b64 s[14:15], s[4:5]
	s_cbranch_execz .LBB0_119
; %bb.118:
	v_mov_b32_e32 v13, s11
	v_mov_b32_e32 v12, s10
	;; [unrolled: 1-line block ×4, first 2 shown]
	global_store_dwordx4 v[10:11], v[12:15], off offset:8
.LBB0_119:
	s_or_b64 exec, exec, s[14:15]
	s_lshl_b64 s[10:11], s[12:13], 12
	v_mov_b32_e32 v9, s11
	v_add_co_u32_e32 v4, vcc, s10, v4
	v_addc_co_u32_e32 v5, vcc, v5, v9, vcc
	s_movk_i32 s10, 0xff1f
	v_and_or_b32 v6, v6, s10, 32
	v_add_co_u32_e32 v12, vcc, v4, v34
	s_mov_b32 s12, 0
	v_mov_b32_e32 v9, v8
	v_readfirstlane_b32 s10, v4
	v_readfirstlane_b32 s11, v5
	v_addc_co_u32_e32 v13, vcc, 0, v5, vcc
	s_mov_b32 s13, s12
	s_mov_b32 s14, s12
	;; [unrolled: 1-line block ×3, first 2 shown]
	s_nop 0
	global_store_dwordx4 v34, v[6:9], s[10:11]
	v_mov_b32_e32 v4, s12
	v_mov_b32_e32 v5, s13
	v_mov_b32_e32 v6, s14
	v_mov_b32_e32 v7, s15
	global_store_dwordx4 v34, v[4:7], s[10:11] offset:16
	global_store_dwordx4 v34, v[4:7], s[10:11] offset:32
	;; [unrolled: 1-line block ×3, first 2 shown]
	s_and_saveexec_b64 s[10:11], s[4:5]
	s_cbranch_execz .LBB0_127
; %bb.120:
	v_mov_b32_e32 v8, 0
	global_load_dwordx2 v[16:17], v8, s[6:7] offset:32 glc
	global_load_dwordx2 v[4:5], v8, s[6:7] offset:40
	v_mov_b32_e32 v14, s8
	v_mov_b32_e32 v15, s9
	s_waitcnt vmcnt(0)
	v_readfirstlane_b32 s12, v4
	v_readfirstlane_b32 s13, v5
	s_and_b64 s[12:13], s[12:13], s[8:9]
	s_mul_i32 s13, s13, 24
	s_mul_hi_u32 s14, s12, 24
	s_mul_i32 s12, s12, 24
	s_add_i32 s13, s14, s13
	v_mov_b32_e32 v4, s13
	v_add_co_u32_e32 v6, vcc, s12, v2
	v_addc_co_u32_e32 v7, vcc, v3, v4, vcc
	global_store_dwordx2 v[6:7], v[16:17], off
	s_waitcnt vmcnt(0)
	global_atomic_cmpswap_x2 v[4:5], v8, v[14:17], s[6:7] offset:32 glc
	s_waitcnt vmcnt(0)
	v_cmp_ne_u64_e32 vcc, v[4:5], v[16:17]
	s_and_saveexec_b64 s[12:13], vcc
	s_cbranch_execz .LBB0_123
; %bb.121:
	s_mov_b64 s[14:15], 0
.LBB0_122:                              ; =>This Inner Loop Header: Depth=1
	s_sleep 1
	global_store_dwordx2 v[6:7], v[4:5], off
	v_mov_b32_e32 v2, s8
	v_mov_b32_e32 v3, s9
	s_waitcnt vmcnt(0)
	global_atomic_cmpswap_x2 v[2:3], v8, v[2:5], s[6:7] offset:32 glc
	s_waitcnt vmcnt(0)
	v_cmp_eq_u64_e32 vcc, v[2:3], v[4:5]
	v_mov_b32_e32 v5, v3
	s_or_b64 s[14:15], vcc, s[14:15]
	v_mov_b32_e32 v4, v2
	s_andn2_b64 exec, exec, s[14:15]
	s_cbranch_execnz .LBB0_122
.LBB0_123:
	s_or_b64 exec, exec, s[12:13]
	v_mov_b32_e32 v5, 0
	global_load_dwordx2 v[2:3], v5, s[6:7] offset:16
	s_mov_b64 s[12:13], exec
	v_mbcnt_lo_u32_b32 v4, s12, 0
	v_mbcnt_hi_u32_b32 v4, s13, v4
	v_cmp_eq_u32_e32 vcc, 0, v4
	s_and_saveexec_b64 s[14:15], vcc
	s_cbranch_execz .LBB0_125
; %bb.124:
	s_bcnt1_i32_b64 s12, s[12:13]
	v_mov_b32_e32 v4, s12
	s_waitcnt vmcnt(0)
	global_atomic_add_x2 v[2:3], v[4:5], off offset:8
.LBB0_125:
	s_or_b64 exec, exec, s[14:15]
	s_waitcnt vmcnt(0)
	global_load_dwordx2 v[4:5], v[2:3], off offset:16
	s_waitcnt vmcnt(0)
	v_cmp_eq_u64_e32 vcc, 0, v[4:5]
	s_cbranch_vccnz .LBB0_127
; %bb.126:
	global_load_dword v2, v[2:3], off offset:24
	v_mov_b32_e32 v3, 0
	s_waitcnt vmcnt(0)
	global_store_dwordx2 v[4:5], v[2:3], off
	v_and_b32_e32 v2, 0xffffff, v2
	v_readfirstlane_b32 m0, v2
	s_sendmsg sendmsg(MSG_INTERRUPT)
.LBB0_127:
	s_or_b64 exec, exec, s[10:11]
	s_branch .LBB0_131
.LBB0_128:                              ;   in Loop: Header=BB0_131 Depth=1
	s_or_b64 exec, exec, s[10:11]
	v_readfirstlane_b32 s10, v2
	s_cmp_eq_u32 s10, 0
	s_cbranch_scc1 .LBB0_130
; %bb.129:                              ;   in Loop: Header=BB0_131 Depth=1
	s_sleep 1
	s_cbranch_execnz .LBB0_131
	s_branch .LBB0_133
.LBB0_130:
	s_branch .LBB0_133
.LBB0_131:                              ; =>This Inner Loop Header: Depth=1
	v_mov_b32_e32 v2, 1
	s_and_saveexec_b64 s[10:11], s[4:5]
	s_cbranch_execz .LBB0_128
; %bb.132:                              ;   in Loop: Header=BB0_131 Depth=1
	global_load_dword v2, v[10:11], off offset:20 glc
	s_waitcnt vmcnt(0)
	buffer_wbinvl1_vol
	v_and_b32_e32 v2, 1, v2
	s_branch .LBB0_128
.LBB0_133:
	global_load_dwordx2 v[2:3], v[12:13], off
	s_and_saveexec_b64 s[10:11], s[4:5]
	s_cbranch_execz .LBB0_136
; %bb.134:
	v_mov_b32_e32 v10, 0
	global_load_dwordx2 v[6:7], v10, s[6:7] offset:40
	global_load_dwordx2 v[11:12], v10, s[6:7] offset:24 glc
	global_load_dwordx2 v[8:9], v10, s[6:7]
	v_mov_b32_e32 v5, s9
	s_mov_b64 s[4:5], 0
	s_waitcnt vmcnt(2)
	v_add_co_u32_e32 v13, vcc, 1, v6
	v_addc_co_u32_e32 v14, vcc, 0, v7, vcc
	v_add_co_u32_e32 v4, vcc, s8, v13
	v_addc_co_u32_e32 v5, vcc, v14, v5, vcc
	v_cmp_eq_u64_e32 vcc, 0, v[4:5]
	v_cndmask_b32_e32 v5, v5, v14, vcc
	v_cndmask_b32_e32 v4, v4, v13, vcc
	v_and_b32_e32 v7, v5, v7
	v_and_b32_e32 v6, v4, v6
	v_mul_lo_u32 v7, v7, 24
	v_mul_hi_u32 v13, v6, 24
	v_mul_lo_u32 v14, v6, 24
	s_waitcnt vmcnt(1)
	v_mov_b32_e32 v6, v11
	v_add_u32_e32 v7, v13, v7
	s_waitcnt vmcnt(0)
	v_add_co_u32_e32 v8, vcc, v8, v14
	v_addc_co_u32_e32 v9, vcc, v9, v7, vcc
	global_store_dwordx2 v[8:9], v[11:12], off
	v_mov_b32_e32 v7, v12
	s_waitcnt vmcnt(0)
	global_atomic_cmpswap_x2 v[6:7], v10, v[4:7], s[6:7] offset:24 glc
	s_waitcnt vmcnt(0)
	v_cmp_ne_u64_e32 vcc, v[6:7], v[11:12]
	s_and_b64 exec, exec, vcc
	s_cbranch_execz .LBB0_136
.LBB0_135:                              ; =>This Inner Loop Header: Depth=1
	s_sleep 1
	global_store_dwordx2 v[8:9], v[6:7], off
	s_waitcnt vmcnt(0)
	global_atomic_cmpswap_x2 v[11:12], v10, v[4:7], s[6:7] offset:24 glc
	s_waitcnt vmcnt(0)
	v_cmp_eq_u64_e32 vcc, v[11:12], v[6:7]
	v_mov_b32_e32 v6, v11
	s_or_b64 s[4:5], vcc, s[4:5]
	v_mov_b32_e32 v7, v12
	s_andn2_b64 exec, exec, s[4:5]
	s_cbranch_execnz .LBB0_135
.LBB0_136:
	s_or_b64 exec, exec, s[10:11]
.LBB0_137:
	v_cmp_ne_u64_e32 vcc, 0, v[0:1]
	v_mov_b32_e32 v26, 0
	v_mov_b32_e32 v27, 0
	s_mov_b64 s[10:11], 0
	s_and_saveexec_b64 s[8:9], vcc
	s_cbranch_execnz .LBB0_162
; %bb.138:
	s_or_b64 exec, exec, s[8:9]
	s_and_saveexec_b64 s[4:5], vcc
	s_xor_b64 s[8:9], exec, s[4:5]
	s_cbranch_execnz .LBB0_165
.LBB0_139:
	s_andn2_saveexec_b64 s[8:9], s[8:9]
	s_cbranch_execz .LBB0_254
.LBB0_140:
	v_readfirstlane_b32 s4, v35
	v_mov_b32_e32 v0, 0
	v_mov_b32_e32 v1, 0
	v_cmp_eq_u32_e64 s[4:5], s4, v35
	s_and_saveexec_b64 s[10:11], s[4:5]
	s_cbranch_execz .LBB0_146
; %bb.141:
	s_waitcnt vmcnt(0)
	v_mov_b32_e32 v4, 0
	global_load_dwordx2 v[7:8], v4, s[6:7] offset:24 glc
	s_waitcnt vmcnt(0)
	buffer_wbinvl1_vol
	global_load_dwordx2 v[0:1], v4, s[6:7] offset:40
	global_load_dwordx2 v[5:6], v4, s[6:7]
	s_waitcnt vmcnt(1)
	v_and_b32_e32 v0, v0, v7
	v_and_b32_e32 v1, v1, v8
	v_mul_lo_u32 v1, v1, 24
	v_mul_hi_u32 v9, v0, 24
	v_mul_lo_u32 v0, v0, 24
	v_add_u32_e32 v1, v9, v1
	s_waitcnt vmcnt(0)
	v_add_co_u32_e32 v0, vcc, v5, v0
	v_addc_co_u32_e32 v1, vcc, v6, v1, vcc
	global_load_dwordx2 v[5:6], v[0:1], off glc
	s_waitcnt vmcnt(0)
	global_atomic_cmpswap_x2 v[0:1], v4, v[5:8], s[6:7] offset:24 glc
	s_waitcnt vmcnt(0)
	buffer_wbinvl1_vol
	v_cmp_ne_u64_e32 vcc, v[0:1], v[7:8]
	s_and_saveexec_b64 s[12:13], vcc
	s_cbranch_execz .LBB0_145
; %bb.142:
	s_mov_b64 s[14:15], 0
.LBB0_143:                              ; =>This Inner Loop Header: Depth=1
	s_sleep 1
	global_load_dwordx2 v[5:6], v4, s[6:7] offset:40
	global_load_dwordx2 v[9:10], v4, s[6:7]
	v_mov_b32_e32 v8, v1
	v_mov_b32_e32 v7, v0
	s_waitcnt vmcnt(1)
	v_and_b32_e32 v0, v5, v7
	s_waitcnt vmcnt(0)
	v_mad_u64_u32 v[0:1], s[16:17], v0, 24, v[9:10]
	v_and_b32_e32 v5, v6, v8
	v_mad_u64_u32 v[5:6], s[16:17], v5, 24, v[1:2]
	v_mov_b32_e32 v1, v5
	global_load_dwordx2 v[5:6], v[0:1], off glc
	s_waitcnt vmcnt(0)
	global_atomic_cmpswap_x2 v[0:1], v4, v[5:8], s[6:7] offset:24 glc
	s_waitcnt vmcnt(0)
	buffer_wbinvl1_vol
	v_cmp_eq_u64_e32 vcc, v[0:1], v[7:8]
	s_or_b64 s[14:15], vcc, s[14:15]
	s_andn2_b64 exec, exec, s[14:15]
	s_cbranch_execnz .LBB0_143
; %bb.144:
	s_or_b64 exec, exec, s[14:15]
.LBB0_145:
	s_or_b64 exec, exec, s[12:13]
.LBB0_146:
	s_or_b64 exec, exec, s[10:11]
	s_waitcnt vmcnt(0)
	v_mov_b32_e32 v4, 0
	global_load_dwordx2 v[10:11], v4, s[6:7] offset:40
	global_load_dwordx4 v[6:9], v4, s[6:7]
	v_readfirstlane_b32 s10, v0
	v_readfirstlane_b32 s11, v1
	s_mov_b64 s[12:13], exec
	s_waitcnt vmcnt(1)
	v_readfirstlane_b32 s14, v10
	v_readfirstlane_b32 s15, v11
	s_and_b64 s[14:15], s[10:11], s[14:15]
	s_mul_i32 s16, s15, 24
	s_mul_hi_u32 s17, s14, 24
	s_mul_i32 s18, s14, 24
	s_add_i32 s16, s17, s16
	v_mov_b32_e32 v0, s16
	s_waitcnt vmcnt(0)
	v_add_co_u32_e32 v10, vcc, s18, v6
	v_addc_co_u32_e32 v11, vcc, v7, v0, vcc
	s_and_saveexec_b64 s[16:17], s[4:5]
	s_cbranch_execz .LBB0_148
; %bb.147:
	v_mov_b32_e32 v12, s12
	v_mov_b32_e32 v13, s13
	;; [unrolled: 1-line block ×4, first 2 shown]
	global_store_dwordx4 v[10:11], v[12:15], off offset:8
.LBB0_148:
	s_or_b64 exec, exec, s[16:17]
	s_lshl_b64 s[12:13], s[14:15], 12
	v_mov_b32_e32 v0, s13
	v_add_co_u32_e32 v1, vcc, s12, v8
	v_addc_co_u32_e32 v0, vcc, v9, v0, vcc
	s_movk_i32 s12, 0xff1d
	v_and_or_b32 v2, v2, s12, 34
	s_mov_b32 s12, 0
	v_mov_b32_e32 v5, v4
	v_readfirstlane_b32 s16, v1
	v_readfirstlane_b32 s17, v0
	s_mov_b32 s13, s12
	s_mov_b32 s14, s12
	;; [unrolled: 1-line block ×3, first 2 shown]
	s_nop 1
	global_store_dwordx4 v34, v[2:5], s[16:17]
	v_mov_b32_e32 v0, s12
	v_mov_b32_e32 v1, s13
	;; [unrolled: 1-line block ×4, first 2 shown]
	global_store_dwordx4 v34, v[0:3], s[16:17] offset:16
	global_store_dwordx4 v34, v[0:3], s[16:17] offset:32
	;; [unrolled: 1-line block ×3, first 2 shown]
	s_and_saveexec_b64 s[12:13], s[4:5]
	s_cbranch_execz .LBB0_156
; %bb.149:
	v_mov_b32_e32 v8, 0
	global_load_dwordx2 v[14:15], v8, s[6:7] offset:32 glc
	global_load_dwordx2 v[0:1], v8, s[6:7] offset:40
	v_mov_b32_e32 v12, s10
	v_mov_b32_e32 v13, s11
	s_waitcnt vmcnt(0)
	v_readfirstlane_b32 s14, v0
	v_readfirstlane_b32 s15, v1
	s_and_b64 s[14:15], s[14:15], s[10:11]
	s_mul_i32 s15, s15, 24
	s_mul_hi_u32 s16, s14, 24
	s_mul_i32 s14, s14, 24
	s_add_i32 s15, s16, s15
	v_mov_b32_e32 v0, s15
	v_add_co_u32_e32 v4, vcc, s14, v6
	v_addc_co_u32_e32 v5, vcc, v7, v0, vcc
	global_store_dwordx2 v[4:5], v[14:15], off
	s_waitcnt vmcnt(0)
	global_atomic_cmpswap_x2 v[2:3], v8, v[12:15], s[6:7] offset:32 glc
	s_waitcnt vmcnt(0)
	v_cmp_ne_u64_e32 vcc, v[2:3], v[14:15]
	s_and_saveexec_b64 s[14:15], vcc
	s_cbranch_execz .LBB0_152
; %bb.150:
	s_mov_b64 s[16:17], 0
.LBB0_151:                              ; =>This Inner Loop Header: Depth=1
	s_sleep 1
	global_store_dwordx2 v[4:5], v[2:3], off
	v_mov_b32_e32 v0, s10
	v_mov_b32_e32 v1, s11
	s_waitcnt vmcnt(0)
	global_atomic_cmpswap_x2 v[0:1], v8, v[0:3], s[6:7] offset:32 glc
	s_waitcnt vmcnt(0)
	v_cmp_eq_u64_e32 vcc, v[0:1], v[2:3]
	v_mov_b32_e32 v3, v1
	s_or_b64 s[16:17], vcc, s[16:17]
	v_mov_b32_e32 v2, v0
	s_andn2_b64 exec, exec, s[16:17]
	s_cbranch_execnz .LBB0_151
.LBB0_152:
	s_or_b64 exec, exec, s[14:15]
	v_mov_b32_e32 v3, 0
	global_load_dwordx2 v[0:1], v3, s[6:7] offset:16
	s_mov_b64 s[14:15], exec
	v_mbcnt_lo_u32_b32 v2, s14, 0
	v_mbcnt_hi_u32_b32 v2, s15, v2
	v_cmp_eq_u32_e32 vcc, 0, v2
	s_and_saveexec_b64 s[16:17], vcc
	s_cbranch_execz .LBB0_154
; %bb.153:
	s_bcnt1_i32_b64 s14, s[14:15]
	v_mov_b32_e32 v2, s14
	s_waitcnt vmcnt(0)
	global_atomic_add_x2 v[0:1], v[2:3], off offset:8
.LBB0_154:
	s_or_b64 exec, exec, s[16:17]
	s_waitcnt vmcnt(0)
	global_load_dwordx2 v[2:3], v[0:1], off offset:16
	s_waitcnt vmcnt(0)
	v_cmp_eq_u64_e32 vcc, 0, v[2:3]
	s_cbranch_vccnz .LBB0_156
; %bb.155:
	global_load_dword v0, v[0:1], off offset:24
	v_mov_b32_e32 v1, 0
	s_waitcnt vmcnt(0)
	global_store_dwordx2 v[2:3], v[0:1], off
	v_and_b32_e32 v0, 0xffffff, v0
	v_readfirstlane_b32 m0, v0
	s_sendmsg sendmsg(MSG_INTERRUPT)
.LBB0_156:
	s_or_b64 exec, exec, s[12:13]
	s_branch .LBB0_160
.LBB0_157:                              ;   in Loop: Header=BB0_160 Depth=1
	s_or_b64 exec, exec, s[12:13]
	v_readfirstlane_b32 s12, v0
	s_cmp_eq_u32 s12, 0
	s_cbranch_scc1 .LBB0_159
; %bb.158:                              ;   in Loop: Header=BB0_160 Depth=1
	s_sleep 1
	s_cbranch_execnz .LBB0_160
	s_branch .LBB0_249
.LBB0_159:
	s_branch .LBB0_249
.LBB0_160:                              ; =>This Inner Loop Header: Depth=1
	v_mov_b32_e32 v0, 1
	s_and_saveexec_b64 s[12:13], s[4:5]
	s_cbranch_execz .LBB0_157
; %bb.161:                              ;   in Loop: Header=BB0_160 Depth=1
	global_load_dword v0, v[10:11], off offset:20 glc
	s_waitcnt vmcnt(0)
	buffer_wbinvl1_vol
	v_and_b32_e32 v0, 1, v0
	s_branch .LBB0_157
.LBB0_162:
	s_waitcnt vmcnt(0)
	v_add_co_u32_e64 v4, s[4:5], -1, v0
	v_addc_co_u32_e64 v5, s[4:5], -1, v1, s[4:5]
.LBB0_163:                              ; =>This Inner Loop Header: Depth=1
	flat_load_ubyte v8, v[4:5] offset:1
	v_add_co_u32_e64 v6, s[4:5], 1, v4
	v_addc_co_u32_e64 v7, s[4:5], 0, v5, s[4:5]
	v_mov_b32_e32 v4, v6
	v_mov_b32_e32 v5, v7
	s_waitcnt vmcnt(0) lgkmcnt(0)
	v_cmp_eq_u16_e64 s[4:5], 0, v8
	s_or_b64 s[10:11], s[4:5], s[10:11]
	s_andn2_b64 exec, exec, s[10:11]
	s_cbranch_execnz .LBB0_163
; %bb.164:
	s_or_b64 exec, exec, s[10:11]
	v_sub_co_u32_e64 v4, s[4:5], v6, v0
	v_subb_co_u32_e64 v5, s[4:5], v7, v1, s[4:5]
	v_add_co_u32_e64 v26, s[4:5], 1, v4
	v_addc_co_u32_e64 v27, s[4:5], 0, v5, s[4:5]
	s_or_b64 exec, exec, s[8:9]
	s_and_saveexec_b64 s[4:5], vcc
	s_xor_b64 s[8:9], exec, s[4:5]
	s_cbranch_execz .LBB0_139
.LBB0_165:
	s_waitcnt vmcnt(0)
	v_and_b32_e32 v2, -3, v2
	s_mov_b64 s[10:11], 0
	s_mov_b32 s20, 0
	v_mov_b32_e32 v29, 0
	s_movk_i32 s21, 0xff1f
	v_mov_b32_e32 v8, 2
	v_mov_b32_e32 v9, 1
	s_branch .LBB0_167
.LBB0_166:                              ;   in Loop: Header=BB0_167 Depth=1
	s_or_b64 exec, exec, s[14:15]
	v_sub_co_u32_e32 v26, vcc, v26, v30
	v_subb_co_u32_e32 v27, vcc, v27, v31, vcc
	v_cmp_eq_u64_e32 vcc, 0, v[26:27]
	s_or_b64 s[10:11], vcc, s[10:11]
	v_add_co_u32_e32 v0, vcc, v0, v30
	v_addc_co_u32_e32 v1, vcc, v1, v31, vcc
	s_andn2_b64 exec, exec, s[10:11]
	s_cbranch_execz .LBB0_253
.LBB0_167:                              ; =>This Loop Header: Depth=1
                                        ;     Child Loop BB0_170 Depth 2
                                        ;     Child Loop BB0_178 Depth 2
	;; [unrolled: 1-line block ×11, first 2 shown]
	v_cmp_gt_u64_e32 vcc, 56, v[26:27]
	v_cmp_gt_u64_e64 s[4:5], 8, v[26:27]
	v_cndmask_b32_e32 v31, 0, v27, vcc
	v_cndmask_b32_e32 v30, 56, v26, vcc
                                        ; implicit-def: $sgpr12
	s_and_saveexec_b64 s[14:15], s[4:5]
	s_xor_b64 s[4:5], exec, s[14:15]
	s_cbranch_execz .LBB0_173
; %bb.168:                              ;   in Loop: Header=BB0_167 Depth=1
	v_cmp_ne_u64_e32 vcc, 0, v[26:27]
	s_waitcnt vmcnt(0)
	v_mov_b32_e32 v4, 0
	v_mov_b32_e32 v5, 0
	s_mov_b64 s[14:15], 0
	s_and_saveexec_b64 s[12:13], vcc
	s_cbranch_execz .LBB0_172
; %bb.169:                              ;   in Loop: Header=BB0_167 Depth=1
	v_lshlrev_b64 v[6:7], 3, v[30:31]
	v_mov_b32_e32 v4, 0
	v_mov_b32_e32 v11, v1
	;; [unrolled: 1-line block ×4, first 2 shown]
	s_mov_b64 s[16:17], 0
.LBB0_170:                              ;   Parent Loop BB0_167 Depth=1
                                        ; =>  This Inner Loop Header: Depth=2
	flat_load_ubyte v7, v[10:11]
	v_mov_b32_e32 v13, s20
	v_add_co_u32_e32 v10, vcc, 1, v10
	v_addc_co_u32_e32 v11, vcc, 0, v11, vcc
	s_waitcnt vmcnt(0) lgkmcnt(0)
	v_and_b32_e32 v12, 0xffff, v7
	v_lshlrev_b64 v[12:13], s16, v[12:13]
	s_add_u32 s16, s16, 8
	s_addc_u32 s17, s17, 0
	v_cmp_eq_u32_e32 vcc, s16, v6
	v_or_b32_e32 v5, v13, v5
	s_or_b64 s[14:15], vcc, s[14:15]
	v_or_b32_e32 v4, v12, v4
	s_andn2_b64 exec, exec, s[14:15]
	s_cbranch_execnz .LBB0_170
; %bb.171:                              ;   in Loop: Header=BB0_167 Depth=1
	s_or_b64 exec, exec, s[14:15]
.LBB0_172:                              ;   in Loop: Header=BB0_167 Depth=1
	s_or_b64 exec, exec, s[12:13]
	s_mov_b32 s12, 0
.LBB0_173:                              ;   in Loop: Header=BB0_167 Depth=1
	s_or_saveexec_b64 s[4:5], s[4:5]
	v_mov_b32_e32 v7, v1
	v_mov_b32_e32 v12, s12
	;; [unrolled: 1-line block ×3, first 2 shown]
	s_xor_b64 exec, exec, s[4:5]
	s_cbranch_execz .LBB0_175
; %bb.174:                              ;   in Loop: Header=BB0_167 Depth=1
	s_waitcnt vmcnt(0)
	flat_load_dwordx2 v[4:5], v[0:1]
	v_add_u32_e32 v12, -8, v30
	s_waitcnt vmcnt(0) lgkmcnt(0)
	v_and_b32_e32 v6, 0xff, v5
	v_and_b32_e32 v7, 0xff00, v5
	;; [unrolled: 1-line block ×4, first 2 shown]
	v_or_b32_e32 v6, v6, v7
	v_or3_b32 v5, v6, v10, v5
	v_add_co_u32_e32 v6, vcc, 8, v0
	v_or3_b32 v4, v4, 0, 0
	v_addc_co_u32_e32 v7, vcc, 0, v1, vcc
.LBB0_175:                              ;   in Loop: Header=BB0_167 Depth=1
	s_or_b64 exec, exec, s[4:5]
	v_cmp_gt_u32_e32 vcc, 8, v12
                                        ; implicit-def: $vgpr10_vgpr11
                                        ; implicit-def: $sgpr12
	s_and_saveexec_b64 s[4:5], vcc
	s_xor_b64 s[4:5], exec, s[4:5]
	s_cbranch_execz .LBB0_181
; %bb.176:                              ;   in Loop: Header=BB0_167 Depth=1
	v_mov_b32_e32 v10, 0
	v_mov_b32_e32 v11, 0
	v_cmp_ne_u32_e32 vcc, 0, v12
	s_and_saveexec_b64 s[12:13], vcc
	s_cbranch_execz .LBB0_180
; %bb.177:                              ;   in Loop: Header=BB0_167 Depth=1
	v_mov_b32_e32 v10, 0
	s_mov_b64 s[14:15], 0
	v_mov_b32_e32 v11, 0
	s_mov_b64 s[16:17], 0
	s_mov_b64 s[18:19], 0
.LBB0_178:                              ;   Parent Loop BB0_167 Depth=1
                                        ; =>  This Inner Loop Header: Depth=2
	v_mov_b32_e32 v14, s19
	v_add_co_u32_e32 v13, vcc, s18, v6
	v_addc_co_u32_e32 v14, vcc, v7, v14, vcc
	flat_load_ubyte v13, v[13:14]
	s_add_u32 s18, s18, 1
	v_mov_b32_e32 v14, s20
	s_addc_u32 s19, s19, 0
	v_cmp_eq_u32_e32 vcc, s18, v12
	s_waitcnt vmcnt(0) lgkmcnt(0)
	v_and_b32_e32 v13, 0xffff, v13
	v_lshlrev_b64 v[13:14], s16, v[13:14]
	s_add_u32 s16, s16, 8
	s_addc_u32 s17, s17, 0
	v_or_b32_e32 v11, v14, v11
	s_or_b64 s[14:15], vcc, s[14:15]
	v_or_b32_e32 v10, v13, v10
	s_andn2_b64 exec, exec, s[14:15]
	s_cbranch_execnz .LBB0_178
; %bb.179:                              ;   in Loop: Header=BB0_167 Depth=1
	s_or_b64 exec, exec, s[14:15]
.LBB0_180:                              ;   in Loop: Header=BB0_167 Depth=1
	s_or_b64 exec, exec, s[12:13]
	s_mov_b32 s12, 0
                                        ; implicit-def: $vgpr12
.LBB0_181:                              ;   in Loop: Header=BB0_167 Depth=1
	s_or_saveexec_b64 s[4:5], s[4:5]
	v_mov_b32_e32 v14, s12
	s_xor_b64 exec, exec, s[4:5]
	s_cbranch_execz .LBB0_183
; %bb.182:                              ;   in Loop: Header=BB0_167 Depth=1
	flat_load_dwordx2 v[10:11], v[6:7]
	v_add_u32_e32 v14, -8, v12
	v_add_co_u32_e32 v6, vcc, 8, v6
	v_addc_co_u32_e32 v7, vcc, 0, v7, vcc
	s_waitcnt vmcnt(0) lgkmcnt(0)
	v_and_b32_e32 v12, 0xff, v11
	v_and_b32_e32 v13, 0xff00, v11
	;; [unrolled: 1-line block ×4, first 2 shown]
	v_or_b32_e32 v12, v12, v13
	v_or3_b32 v10, v10, 0, 0
	v_or3_b32 v11, v12, v15, v11
.LBB0_183:                              ;   in Loop: Header=BB0_167 Depth=1
	s_or_b64 exec, exec, s[4:5]
	v_cmp_gt_u32_e32 vcc, 8, v14
                                        ; implicit-def: $sgpr12
	s_and_saveexec_b64 s[4:5], vcc
	s_xor_b64 s[4:5], exec, s[4:5]
	s_cbranch_execz .LBB0_189
; %bb.184:                              ;   in Loop: Header=BB0_167 Depth=1
	v_mov_b32_e32 v12, 0
	v_mov_b32_e32 v13, 0
	v_cmp_ne_u32_e32 vcc, 0, v14
	s_and_saveexec_b64 s[12:13], vcc
	s_cbranch_execz .LBB0_188
; %bb.185:                              ;   in Loop: Header=BB0_167 Depth=1
	v_mov_b32_e32 v12, 0
	s_mov_b64 s[14:15], 0
	v_mov_b32_e32 v13, 0
	s_mov_b64 s[16:17], 0
	s_mov_b64 s[18:19], 0
.LBB0_186:                              ;   Parent Loop BB0_167 Depth=1
                                        ; =>  This Inner Loop Header: Depth=2
	v_mov_b32_e32 v16, s19
	v_add_co_u32_e32 v15, vcc, s18, v6
	v_addc_co_u32_e32 v16, vcc, v7, v16, vcc
	flat_load_ubyte v15, v[15:16]
	s_add_u32 s18, s18, 1
	v_mov_b32_e32 v16, s20
	s_addc_u32 s19, s19, 0
	v_cmp_eq_u32_e32 vcc, s18, v14
	s_waitcnt vmcnt(0) lgkmcnt(0)
	v_and_b32_e32 v15, 0xffff, v15
	v_lshlrev_b64 v[15:16], s16, v[15:16]
	s_add_u32 s16, s16, 8
	s_addc_u32 s17, s17, 0
	v_or_b32_e32 v13, v16, v13
	s_or_b64 s[14:15], vcc, s[14:15]
	v_or_b32_e32 v12, v15, v12
	s_andn2_b64 exec, exec, s[14:15]
	s_cbranch_execnz .LBB0_186
; %bb.187:                              ;   in Loop: Header=BB0_167 Depth=1
	s_or_b64 exec, exec, s[14:15]
.LBB0_188:                              ;   in Loop: Header=BB0_167 Depth=1
	s_or_b64 exec, exec, s[12:13]
	s_mov_b32 s12, 0
                                        ; implicit-def: $vgpr14
.LBB0_189:                              ;   in Loop: Header=BB0_167 Depth=1
	s_or_saveexec_b64 s[4:5], s[4:5]
	v_mov_b32_e32 v16, s12
	s_xor_b64 exec, exec, s[4:5]
	s_cbranch_execz .LBB0_191
; %bb.190:                              ;   in Loop: Header=BB0_167 Depth=1
	flat_load_dwordx2 v[12:13], v[6:7]
	v_add_u32_e32 v16, -8, v14
	v_add_co_u32_e32 v6, vcc, 8, v6
	v_addc_co_u32_e32 v7, vcc, 0, v7, vcc
	s_waitcnt vmcnt(0) lgkmcnt(0)
	v_and_b32_e32 v14, 0xff, v13
	v_and_b32_e32 v15, 0xff00, v13
	;; [unrolled: 1-line block ×4, first 2 shown]
	v_or_b32_e32 v14, v14, v15
	v_or3_b32 v12, v12, 0, 0
	v_or3_b32 v13, v14, v17, v13
.LBB0_191:                              ;   in Loop: Header=BB0_167 Depth=1
	s_or_b64 exec, exec, s[4:5]
	v_cmp_gt_u32_e32 vcc, 8, v16
                                        ; implicit-def: $vgpr14_vgpr15
                                        ; implicit-def: $sgpr12
	s_and_saveexec_b64 s[4:5], vcc
	s_xor_b64 s[4:5], exec, s[4:5]
	s_cbranch_execz .LBB0_197
; %bb.192:                              ;   in Loop: Header=BB0_167 Depth=1
	v_mov_b32_e32 v14, 0
	v_mov_b32_e32 v15, 0
	v_cmp_ne_u32_e32 vcc, 0, v16
	s_and_saveexec_b64 s[12:13], vcc
	s_cbranch_execz .LBB0_196
; %bb.193:                              ;   in Loop: Header=BB0_167 Depth=1
	v_mov_b32_e32 v14, 0
	s_mov_b64 s[14:15], 0
	v_mov_b32_e32 v15, 0
	s_mov_b64 s[16:17], 0
	s_mov_b64 s[18:19], 0
.LBB0_194:                              ;   Parent Loop BB0_167 Depth=1
                                        ; =>  This Inner Loop Header: Depth=2
	v_mov_b32_e32 v18, s19
	v_add_co_u32_e32 v17, vcc, s18, v6
	v_addc_co_u32_e32 v18, vcc, v7, v18, vcc
	flat_load_ubyte v17, v[17:18]
	s_add_u32 s18, s18, 1
	v_mov_b32_e32 v18, s20
	s_addc_u32 s19, s19, 0
	v_cmp_eq_u32_e32 vcc, s18, v16
	s_waitcnt vmcnt(0) lgkmcnt(0)
	v_and_b32_e32 v17, 0xffff, v17
	v_lshlrev_b64 v[17:18], s16, v[17:18]
	s_add_u32 s16, s16, 8
	s_addc_u32 s17, s17, 0
	v_or_b32_e32 v15, v18, v15
	s_or_b64 s[14:15], vcc, s[14:15]
	v_or_b32_e32 v14, v17, v14
	s_andn2_b64 exec, exec, s[14:15]
	s_cbranch_execnz .LBB0_194
; %bb.195:                              ;   in Loop: Header=BB0_167 Depth=1
	s_or_b64 exec, exec, s[14:15]
.LBB0_196:                              ;   in Loop: Header=BB0_167 Depth=1
	s_or_b64 exec, exec, s[12:13]
	s_mov_b32 s12, 0
                                        ; implicit-def: $vgpr16
.LBB0_197:                              ;   in Loop: Header=BB0_167 Depth=1
	s_or_saveexec_b64 s[4:5], s[4:5]
	v_mov_b32_e32 v18, s12
	s_xor_b64 exec, exec, s[4:5]
	s_cbranch_execz .LBB0_199
; %bb.198:                              ;   in Loop: Header=BB0_167 Depth=1
	flat_load_dwordx2 v[14:15], v[6:7]
	v_add_u32_e32 v18, -8, v16
	v_add_co_u32_e32 v6, vcc, 8, v6
	v_addc_co_u32_e32 v7, vcc, 0, v7, vcc
	s_waitcnt vmcnt(0) lgkmcnt(0)
	v_and_b32_e32 v16, 0xff, v15
	v_and_b32_e32 v17, 0xff00, v15
	;; [unrolled: 1-line block ×4, first 2 shown]
	v_or_b32_e32 v16, v16, v17
	v_or3_b32 v14, v14, 0, 0
	v_or3_b32 v15, v16, v19, v15
.LBB0_199:                              ;   in Loop: Header=BB0_167 Depth=1
	s_or_b64 exec, exec, s[4:5]
	v_cmp_gt_u32_e32 vcc, 8, v18
                                        ; implicit-def: $sgpr12
	s_and_saveexec_b64 s[4:5], vcc
	s_xor_b64 s[4:5], exec, s[4:5]
	s_cbranch_execz .LBB0_205
; %bb.200:                              ;   in Loop: Header=BB0_167 Depth=1
	v_mov_b32_e32 v16, 0
	v_mov_b32_e32 v17, 0
	v_cmp_ne_u32_e32 vcc, 0, v18
	s_and_saveexec_b64 s[12:13], vcc
	s_cbranch_execz .LBB0_204
; %bb.201:                              ;   in Loop: Header=BB0_167 Depth=1
	v_mov_b32_e32 v16, 0
	s_mov_b64 s[14:15], 0
	v_mov_b32_e32 v17, 0
	s_mov_b64 s[16:17], 0
	s_mov_b64 s[18:19], 0
.LBB0_202:                              ;   Parent Loop BB0_167 Depth=1
                                        ; =>  This Inner Loop Header: Depth=2
	v_mov_b32_e32 v20, s19
	v_add_co_u32_e32 v19, vcc, s18, v6
	v_addc_co_u32_e32 v20, vcc, v7, v20, vcc
	flat_load_ubyte v19, v[19:20]
	s_add_u32 s18, s18, 1
	v_mov_b32_e32 v20, s20
	s_addc_u32 s19, s19, 0
	v_cmp_eq_u32_e32 vcc, s18, v18
	s_waitcnt vmcnt(0) lgkmcnt(0)
	v_and_b32_e32 v19, 0xffff, v19
	v_lshlrev_b64 v[19:20], s16, v[19:20]
	s_add_u32 s16, s16, 8
	s_addc_u32 s17, s17, 0
	v_or_b32_e32 v17, v20, v17
	s_or_b64 s[14:15], vcc, s[14:15]
	v_or_b32_e32 v16, v19, v16
	s_andn2_b64 exec, exec, s[14:15]
	s_cbranch_execnz .LBB0_202
; %bb.203:                              ;   in Loop: Header=BB0_167 Depth=1
	s_or_b64 exec, exec, s[14:15]
.LBB0_204:                              ;   in Loop: Header=BB0_167 Depth=1
	s_or_b64 exec, exec, s[12:13]
	s_mov_b32 s12, 0
                                        ; implicit-def: $vgpr18
.LBB0_205:                              ;   in Loop: Header=BB0_167 Depth=1
	s_or_saveexec_b64 s[4:5], s[4:5]
	v_mov_b32_e32 v20, s12
	s_xor_b64 exec, exec, s[4:5]
	s_cbranch_execz .LBB0_207
; %bb.206:                              ;   in Loop: Header=BB0_167 Depth=1
	flat_load_dwordx2 v[16:17], v[6:7]
	v_add_u32_e32 v20, -8, v18
	v_add_co_u32_e32 v6, vcc, 8, v6
	v_addc_co_u32_e32 v7, vcc, 0, v7, vcc
	s_waitcnt vmcnt(0) lgkmcnt(0)
	v_and_b32_e32 v18, 0xff, v17
	v_and_b32_e32 v19, 0xff00, v17
	;; [unrolled: 1-line block ×4, first 2 shown]
	v_or_b32_e32 v18, v18, v19
	v_or3_b32 v16, v16, 0, 0
	v_or3_b32 v17, v18, v21, v17
.LBB0_207:                              ;   in Loop: Header=BB0_167 Depth=1
	s_or_b64 exec, exec, s[4:5]
	v_cmp_gt_u32_e32 vcc, 8, v20
                                        ; implicit-def: $vgpr18_vgpr19
                                        ; implicit-def: $sgpr12
	s_and_saveexec_b64 s[4:5], vcc
	s_xor_b64 s[4:5], exec, s[4:5]
	s_cbranch_execz .LBB0_213
; %bb.208:                              ;   in Loop: Header=BB0_167 Depth=1
	v_mov_b32_e32 v18, 0
	v_mov_b32_e32 v19, 0
	v_cmp_ne_u32_e32 vcc, 0, v20
	s_and_saveexec_b64 s[12:13], vcc
	s_cbranch_execz .LBB0_212
; %bb.209:                              ;   in Loop: Header=BB0_167 Depth=1
	v_mov_b32_e32 v18, 0
	s_mov_b64 s[14:15], 0
	v_mov_b32_e32 v19, 0
	s_mov_b64 s[16:17], 0
	s_mov_b64 s[18:19], 0
.LBB0_210:                              ;   Parent Loop BB0_167 Depth=1
                                        ; =>  This Inner Loop Header: Depth=2
	v_mov_b32_e32 v22, s19
	v_add_co_u32_e32 v21, vcc, s18, v6
	v_addc_co_u32_e32 v22, vcc, v7, v22, vcc
	flat_load_ubyte v21, v[21:22]
	s_add_u32 s18, s18, 1
	v_mov_b32_e32 v22, s20
	s_addc_u32 s19, s19, 0
	v_cmp_eq_u32_e32 vcc, s18, v20
	s_waitcnt vmcnt(0) lgkmcnt(0)
	v_and_b32_e32 v21, 0xffff, v21
	v_lshlrev_b64 v[21:22], s16, v[21:22]
	s_add_u32 s16, s16, 8
	s_addc_u32 s17, s17, 0
	v_or_b32_e32 v19, v22, v19
	s_or_b64 s[14:15], vcc, s[14:15]
	v_or_b32_e32 v18, v21, v18
	s_andn2_b64 exec, exec, s[14:15]
	s_cbranch_execnz .LBB0_210
; %bb.211:                              ;   in Loop: Header=BB0_167 Depth=1
	s_or_b64 exec, exec, s[14:15]
.LBB0_212:                              ;   in Loop: Header=BB0_167 Depth=1
	s_or_b64 exec, exec, s[12:13]
	s_mov_b32 s12, 0
                                        ; implicit-def: $vgpr20
.LBB0_213:                              ;   in Loop: Header=BB0_167 Depth=1
	s_or_saveexec_b64 s[4:5], s[4:5]
	v_mov_b32_e32 v22, s12
	s_xor_b64 exec, exec, s[4:5]
	s_cbranch_execz .LBB0_215
; %bb.214:                              ;   in Loop: Header=BB0_167 Depth=1
	flat_load_dwordx2 v[18:19], v[6:7]
	v_add_u32_e32 v22, -8, v20
	v_add_co_u32_e32 v6, vcc, 8, v6
	v_addc_co_u32_e32 v7, vcc, 0, v7, vcc
	s_waitcnt vmcnt(0) lgkmcnt(0)
	v_and_b32_e32 v20, 0xff, v19
	v_and_b32_e32 v21, 0xff00, v19
	v_and_b32_e32 v23, 0xff0000, v19
	v_and_b32_e32 v19, 0xff000000, v19
	v_or_b32_e32 v20, v20, v21
	v_or3_b32 v18, v18, 0, 0
	v_or3_b32 v19, v20, v23, v19
.LBB0_215:                              ;   in Loop: Header=BB0_167 Depth=1
	s_or_b64 exec, exec, s[4:5]
	v_cmp_gt_u32_e32 vcc, 8, v22
	s_and_saveexec_b64 s[4:5], vcc
	s_xor_b64 s[4:5], exec, s[4:5]
	s_cbranch_execz .LBB0_221
; %bb.216:                              ;   in Loop: Header=BB0_167 Depth=1
	v_mov_b32_e32 v20, 0
	v_mov_b32_e32 v21, 0
	v_cmp_ne_u32_e32 vcc, 0, v22
	s_and_saveexec_b64 s[12:13], vcc
	s_cbranch_execz .LBB0_220
; %bb.217:                              ;   in Loop: Header=BB0_167 Depth=1
	v_mov_b32_e32 v20, 0
	s_mov_b64 s[14:15], 0
	v_mov_b32_e32 v21, 0
	s_mov_b64 s[16:17], 0
.LBB0_218:                              ;   Parent Loop BB0_167 Depth=1
                                        ; =>  This Inner Loop Header: Depth=2
	flat_load_ubyte v23, v[6:7]
	v_mov_b32_e32 v24, s20
	v_add_co_u32_e32 v6, vcc, 1, v6
	v_add_u32_e32 v22, -1, v22
	v_addc_co_u32_e32 v7, vcc, 0, v7, vcc
	v_cmp_eq_u32_e32 vcc, 0, v22
	s_waitcnt vmcnt(0) lgkmcnt(0)
	v_and_b32_e32 v23, 0xffff, v23
	v_lshlrev_b64 v[23:24], s16, v[23:24]
	s_add_u32 s16, s16, 8
	s_addc_u32 s17, s17, 0
	v_or_b32_e32 v21, v24, v21
	s_or_b64 s[14:15], vcc, s[14:15]
	v_or_b32_e32 v20, v23, v20
	s_andn2_b64 exec, exec, s[14:15]
	s_cbranch_execnz .LBB0_218
; %bb.219:                              ;   in Loop: Header=BB0_167 Depth=1
	s_or_b64 exec, exec, s[14:15]
.LBB0_220:                              ;   in Loop: Header=BB0_167 Depth=1
	s_or_b64 exec, exec, s[12:13]
                                        ; implicit-def: $vgpr6_vgpr7
.LBB0_221:                              ;   in Loop: Header=BB0_167 Depth=1
	s_andn2_saveexec_b64 s[4:5], s[4:5]
	s_cbranch_execz .LBB0_223
; %bb.222:                              ;   in Loop: Header=BB0_167 Depth=1
	flat_load_dwordx2 v[6:7], v[6:7]
	s_waitcnt vmcnt(0) lgkmcnt(0)
	v_and_b32_e32 v20, 0xff, v7
	v_and_b32_e32 v21, 0xff00, v7
	;; [unrolled: 1-line block ×4, first 2 shown]
	v_or_b32_e32 v20, v20, v21
	v_or3_b32 v21, v20, v22, v7
	v_or3_b32 v20, v6, 0, 0
.LBB0_223:                              ;   in Loop: Header=BB0_167 Depth=1
	s_or_b64 exec, exec, s[4:5]
	v_readfirstlane_b32 s4, v35
	v_mov_b32_e32 v6, 0
	v_mov_b32_e32 v7, 0
	v_cmp_eq_u32_e64 s[4:5], s4, v35
	s_and_saveexec_b64 s[12:13], s[4:5]
	s_cbranch_execz .LBB0_229
; %bb.224:                              ;   in Loop: Header=BB0_167 Depth=1
	global_load_dwordx2 v[24:25], v29, s[6:7] offset:24 glc
	s_waitcnt vmcnt(0)
	buffer_wbinvl1_vol
	global_load_dwordx2 v[6:7], v29, s[6:7] offset:40
	global_load_dwordx2 v[22:23], v29, s[6:7]
	s_waitcnt vmcnt(1)
	v_and_b32_e32 v6, v6, v24
	v_and_b32_e32 v7, v7, v25
	v_mul_lo_u32 v7, v7, 24
	v_mul_hi_u32 v28, v6, 24
	v_mul_lo_u32 v6, v6, 24
	v_add_u32_e32 v7, v28, v7
	s_waitcnt vmcnt(0)
	v_add_co_u32_e32 v6, vcc, v22, v6
	v_addc_co_u32_e32 v7, vcc, v23, v7, vcc
	global_load_dwordx2 v[22:23], v[6:7], off glc
	s_waitcnt vmcnt(0)
	global_atomic_cmpswap_x2 v[6:7], v29, v[22:25], s[6:7] offset:24 glc
	s_waitcnt vmcnt(0)
	buffer_wbinvl1_vol
	v_cmp_ne_u64_e32 vcc, v[6:7], v[24:25]
	s_and_saveexec_b64 s[14:15], vcc
	s_cbranch_execz .LBB0_228
; %bb.225:                              ;   in Loop: Header=BB0_167 Depth=1
	s_mov_b64 s[16:17], 0
.LBB0_226:                              ;   Parent Loop BB0_167 Depth=1
                                        ; =>  This Inner Loop Header: Depth=2
	s_sleep 1
	global_load_dwordx2 v[22:23], v29, s[6:7] offset:40
	global_load_dwordx2 v[32:33], v29, s[6:7]
	v_mov_b32_e32 v25, v7
	v_mov_b32_e32 v24, v6
	s_waitcnt vmcnt(1)
	v_and_b32_e32 v6, v22, v24
	s_waitcnt vmcnt(0)
	v_mad_u64_u32 v[6:7], s[18:19], v6, 24, v[32:33]
	v_and_b32_e32 v22, v23, v25
	v_mad_u64_u32 v[22:23], s[18:19], v22, 24, v[7:8]
	v_mov_b32_e32 v7, v22
	global_load_dwordx2 v[22:23], v[6:7], off glc
	s_waitcnt vmcnt(0)
	global_atomic_cmpswap_x2 v[6:7], v29, v[22:25], s[6:7] offset:24 glc
	s_waitcnt vmcnt(0)
	buffer_wbinvl1_vol
	v_cmp_eq_u64_e32 vcc, v[6:7], v[24:25]
	s_or_b64 s[16:17], vcc, s[16:17]
	s_andn2_b64 exec, exec, s[16:17]
	s_cbranch_execnz .LBB0_226
; %bb.227:                              ;   in Loop: Header=BB0_167 Depth=1
	s_or_b64 exec, exec, s[16:17]
.LBB0_228:                              ;   in Loop: Header=BB0_167 Depth=1
	s_or_b64 exec, exec, s[14:15]
.LBB0_229:                              ;   in Loop: Header=BB0_167 Depth=1
	s_or_b64 exec, exec, s[12:13]
	global_load_dwordx2 v[32:33], v29, s[6:7] offset:40
	global_load_dwordx4 v[22:25], v29, s[6:7]
	v_readfirstlane_b32 s12, v6
	v_readfirstlane_b32 s13, v7
	s_mov_b64 s[14:15], exec
	s_waitcnt vmcnt(1)
	v_readfirstlane_b32 s16, v32
	v_readfirstlane_b32 s17, v33
	s_and_b64 s[16:17], s[12:13], s[16:17]
	s_mul_i32 s18, s17, 24
	s_mul_hi_u32 s19, s16, 24
	s_mul_i32 s22, s16, 24
	s_add_i32 s18, s19, s18
	v_mov_b32_e32 v6, s18
	s_waitcnt vmcnt(0)
	v_add_co_u32_e32 v32, vcc, s22, v22
	v_addc_co_u32_e32 v33, vcc, v23, v6, vcc
	s_and_saveexec_b64 s[18:19], s[4:5]
	s_cbranch_execz .LBB0_231
; %bb.230:                              ;   in Loop: Header=BB0_167 Depth=1
	v_mov_b32_e32 v6, s14
	v_mov_b32_e32 v7, s15
	global_store_dwordx4 v[32:33], v[6:9], off offset:8
.LBB0_231:                              ;   in Loop: Header=BB0_167 Depth=1
	s_or_b64 exec, exec, s[18:19]
	s_lshl_b64 s[14:15], s[16:17], 12
	v_mov_b32_e32 v6, s15
	v_add_co_u32_e32 v24, vcc, s14, v24
	v_addc_co_u32_e32 v25, vcc, v25, v6, vcc
	v_cmp_lt_u64_e32 vcc, 56, v[26:27]
	v_or_b32_e32 v6, 2, v2
	v_cndmask_b32_e32 v2, v6, v2, vcc
	v_lshl_add_u32 v6, v30, 2, 28
	v_and_b32_e32 v6, 0x1e0, v6
	v_and_or_b32 v2, v2, s21, v6
	v_readfirstlane_b32 s14, v24
	v_readfirstlane_b32 s15, v25
	s_nop 4
	global_store_dwordx4 v34, v[2:5], s[14:15]
	global_store_dwordx4 v34, v[10:13], s[14:15] offset:16
	global_store_dwordx4 v34, v[14:17], s[14:15] offset:32
	;; [unrolled: 1-line block ×3, first 2 shown]
	s_and_saveexec_b64 s[14:15], s[4:5]
	s_cbranch_execz .LBB0_239
; %bb.232:                              ;   in Loop: Header=BB0_167 Depth=1
	global_load_dwordx2 v[12:13], v29, s[6:7] offset:32 glc
	global_load_dwordx2 v[2:3], v29, s[6:7] offset:40
	v_mov_b32_e32 v10, s12
	v_mov_b32_e32 v11, s13
	s_waitcnt vmcnt(0)
	v_readfirstlane_b32 s16, v2
	v_readfirstlane_b32 s17, v3
	s_and_b64 s[16:17], s[16:17], s[12:13]
	s_mul_i32 s17, s17, 24
	s_mul_hi_u32 s18, s16, 24
	s_mul_i32 s16, s16, 24
	s_add_i32 s17, s18, s17
	v_mov_b32_e32 v2, s17
	v_add_co_u32_e32 v6, vcc, s16, v22
	v_addc_co_u32_e32 v7, vcc, v23, v2, vcc
	global_store_dwordx2 v[6:7], v[12:13], off
	s_waitcnt vmcnt(0)
	global_atomic_cmpswap_x2 v[4:5], v29, v[10:13], s[6:7] offset:32 glc
	s_waitcnt vmcnt(0)
	v_cmp_ne_u64_e32 vcc, v[4:5], v[12:13]
	s_and_saveexec_b64 s[16:17], vcc
	s_cbranch_execz .LBB0_235
; %bb.233:                              ;   in Loop: Header=BB0_167 Depth=1
	s_mov_b64 s[18:19], 0
.LBB0_234:                              ;   Parent Loop BB0_167 Depth=1
                                        ; =>  This Inner Loop Header: Depth=2
	s_sleep 1
	global_store_dwordx2 v[6:7], v[4:5], off
	v_mov_b32_e32 v2, s12
	v_mov_b32_e32 v3, s13
	s_waitcnt vmcnt(0)
	global_atomic_cmpswap_x2 v[2:3], v29, v[2:5], s[6:7] offset:32 glc
	s_waitcnt vmcnt(0)
	v_cmp_eq_u64_e32 vcc, v[2:3], v[4:5]
	v_mov_b32_e32 v5, v3
	s_or_b64 s[18:19], vcc, s[18:19]
	v_mov_b32_e32 v4, v2
	s_andn2_b64 exec, exec, s[18:19]
	s_cbranch_execnz .LBB0_234
.LBB0_235:                              ;   in Loop: Header=BB0_167 Depth=1
	s_or_b64 exec, exec, s[16:17]
	global_load_dwordx2 v[2:3], v29, s[6:7] offset:16
	s_mov_b64 s[18:19], exec
	v_mbcnt_lo_u32_b32 v4, s18, 0
	v_mbcnt_hi_u32_b32 v4, s19, v4
	v_cmp_eq_u32_e32 vcc, 0, v4
	s_and_saveexec_b64 s[16:17], vcc
	s_cbranch_execz .LBB0_237
; %bb.236:                              ;   in Loop: Header=BB0_167 Depth=1
	s_bcnt1_i32_b64 s18, s[18:19]
	v_mov_b32_e32 v28, s18
	s_waitcnt vmcnt(0)
	global_atomic_add_x2 v[2:3], v[28:29], off offset:8
.LBB0_237:                              ;   in Loop: Header=BB0_167 Depth=1
	s_or_b64 exec, exec, s[16:17]
	s_waitcnt vmcnt(0)
	global_load_dwordx2 v[4:5], v[2:3], off offset:16
	s_waitcnt vmcnt(0)
	v_cmp_eq_u64_e32 vcc, 0, v[4:5]
	s_cbranch_vccnz .LBB0_239
; %bb.238:                              ;   in Loop: Header=BB0_167 Depth=1
	global_load_dword v28, v[2:3], off offset:24
	s_waitcnt vmcnt(0)
	v_and_b32_e32 v2, 0xffffff, v28
	v_readfirstlane_b32 m0, v2
	global_store_dwordx2 v[4:5], v[28:29], off
	s_sendmsg sendmsg(MSG_INTERRUPT)
.LBB0_239:                              ;   in Loop: Header=BB0_167 Depth=1
	s_or_b64 exec, exec, s[14:15]
	v_add_co_u32_e32 v2, vcc, v24, v34
	v_addc_co_u32_e32 v3, vcc, 0, v25, vcc
	s_branch .LBB0_243
.LBB0_240:                              ;   in Loop: Header=BB0_243 Depth=2
	s_or_b64 exec, exec, s[14:15]
	v_readfirstlane_b32 s14, v4
	s_cmp_eq_u32 s14, 0
	s_cbranch_scc1 .LBB0_242
; %bb.241:                              ;   in Loop: Header=BB0_243 Depth=2
	s_sleep 1
	s_cbranch_execnz .LBB0_243
	s_branch .LBB0_245
.LBB0_242:                              ;   in Loop: Header=BB0_167 Depth=1
	s_branch .LBB0_245
.LBB0_243:                              ;   Parent Loop BB0_167 Depth=1
                                        ; =>  This Inner Loop Header: Depth=2
	v_mov_b32_e32 v4, 1
	s_and_saveexec_b64 s[14:15], s[4:5]
	s_cbranch_execz .LBB0_240
; %bb.244:                              ;   in Loop: Header=BB0_243 Depth=2
	global_load_dword v4, v[32:33], off offset:20 glc
	s_waitcnt vmcnt(0)
	buffer_wbinvl1_vol
	v_and_b32_e32 v4, 1, v4
	s_branch .LBB0_240
.LBB0_245:                              ;   in Loop: Header=BB0_167 Depth=1
	global_load_dwordx4 v[2:5], v[2:3], off
	s_and_saveexec_b64 s[14:15], s[4:5]
	s_cbranch_execz .LBB0_166
; %bb.246:                              ;   in Loop: Header=BB0_167 Depth=1
	global_load_dwordx2 v[6:7], v29, s[6:7] offset:40
	global_load_dwordx2 v[12:13], v29, s[6:7] offset:24 glc
	global_load_dwordx2 v[10:11], v29, s[6:7]
	s_waitcnt vmcnt(3)
	v_mov_b32_e32 v5, s13
	s_waitcnt vmcnt(2)
	v_add_co_u32_e32 v14, vcc, 1, v6
	v_addc_co_u32_e32 v15, vcc, 0, v7, vcc
	v_add_co_u32_e32 v4, vcc, s12, v14
	v_addc_co_u32_e32 v5, vcc, v15, v5, vcc
	v_cmp_eq_u64_e32 vcc, 0, v[4:5]
	v_cndmask_b32_e32 v5, v5, v15, vcc
	v_cndmask_b32_e32 v4, v4, v14, vcc
	v_and_b32_e32 v7, v5, v7
	v_and_b32_e32 v6, v4, v6
	v_mul_lo_u32 v7, v7, 24
	v_mul_hi_u32 v14, v6, 24
	v_mul_lo_u32 v15, v6, 24
	s_waitcnt vmcnt(1)
	v_mov_b32_e32 v6, v12
	v_add_u32_e32 v7, v14, v7
	s_waitcnt vmcnt(0)
	v_add_co_u32_e32 v10, vcc, v10, v15
	v_addc_co_u32_e32 v11, vcc, v11, v7, vcc
	global_store_dwordx2 v[10:11], v[12:13], off
	v_mov_b32_e32 v7, v13
	s_waitcnt vmcnt(0)
	global_atomic_cmpswap_x2 v[6:7], v29, v[4:7], s[6:7] offset:24 glc
	s_waitcnt vmcnt(0)
	v_cmp_ne_u64_e32 vcc, v[6:7], v[12:13]
	s_and_b64 exec, exec, vcc
	s_cbranch_execz .LBB0_166
; %bb.247:                              ;   in Loop: Header=BB0_167 Depth=1
	s_mov_b64 s[4:5], 0
.LBB0_248:                              ;   Parent Loop BB0_167 Depth=1
                                        ; =>  This Inner Loop Header: Depth=2
	s_sleep 1
	global_store_dwordx2 v[10:11], v[6:7], off
	s_waitcnt vmcnt(0)
	global_atomic_cmpswap_x2 v[12:13], v29, v[4:7], s[6:7] offset:24 glc
	s_waitcnt vmcnt(0)
	v_cmp_eq_u64_e32 vcc, v[12:13], v[6:7]
	v_mov_b32_e32 v6, v12
	s_or_b64 s[4:5], vcc, s[4:5]
	v_mov_b32_e32 v7, v13
	s_andn2_b64 exec, exec, s[4:5]
	s_cbranch_execnz .LBB0_248
	s_branch .LBB0_166
.LBB0_249:
	s_and_saveexec_b64 s[12:13], s[4:5]
	s_cbranch_execz .LBB0_252
; %bb.250:
	v_mov_b32_e32 v6, 0
	global_load_dwordx2 v[2:3], v6, s[6:7] offset:40
	global_load_dwordx2 v[7:8], v6, s[6:7] offset:24 glc
	global_load_dwordx2 v[4:5], v6, s[6:7]
	v_mov_b32_e32 v1, s11
	s_mov_b64 s[4:5], 0
	s_waitcnt vmcnt(2)
	v_add_co_u32_e32 v9, vcc, 1, v2
	v_addc_co_u32_e32 v10, vcc, 0, v3, vcc
	v_add_co_u32_e32 v0, vcc, s10, v9
	v_addc_co_u32_e32 v1, vcc, v10, v1, vcc
	v_cmp_eq_u64_e32 vcc, 0, v[0:1]
	v_cndmask_b32_e32 v1, v1, v10, vcc
	v_cndmask_b32_e32 v0, v0, v9, vcc
	v_and_b32_e32 v3, v1, v3
	v_and_b32_e32 v2, v0, v2
	v_mul_lo_u32 v3, v3, 24
	v_mul_hi_u32 v9, v2, 24
	v_mul_lo_u32 v10, v2, 24
	s_waitcnt vmcnt(1)
	v_mov_b32_e32 v2, v7
	v_add_u32_e32 v3, v9, v3
	s_waitcnt vmcnt(0)
	v_add_co_u32_e32 v4, vcc, v4, v10
	v_addc_co_u32_e32 v5, vcc, v5, v3, vcc
	global_store_dwordx2 v[4:5], v[7:8], off
	v_mov_b32_e32 v3, v8
	s_waitcnt vmcnt(0)
	global_atomic_cmpswap_x2 v[2:3], v6, v[0:3], s[6:7] offset:24 glc
	s_waitcnt vmcnt(0)
	v_cmp_ne_u64_e32 vcc, v[2:3], v[7:8]
	s_and_b64 exec, exec, vcc
	s_cbranch_execz .LBB0_252
.LBB0_251:                              ; =>This Inner Loop Header: Depth=1
	s_sleep 1
	global_store_dwordx2 v[4:5], v[2:3], off
	s_waitcnt vmcnt(0)
	global_atomic_cmpswap_x2 v[7:8], v6, v[0:3], s[6:7] offset:24 glc
	s_waitcnt vmcnt(0)
	v_cmp_eq_u64_e32 vcc, v[7:8], v[2:3]
	v_mov_b32_e32 v2, v7
	s_or_b64 s[4:5], vcc, s[4:5]
	v_mov_b32_e32 v3, v8
	s_andn2_b64 exec, exec, s[4:5]
	s_cbranch_execnz .LBB0_251
.LBB0_252:
	s_or_b64 exec, exec, s[12:13]
	s_or_b64 exec, exec, s[8:9]
	s_waitcnt vmcnt(0) lgkmcnt(0)
	s_setpc_b64 s[30:31]
.LBB0_253:
	s_or_b64 exec, exec, s[10:11]
                                        ; implicit-def: $vgpr2_vgpr3
                                        ; implicit-def: $vgpr34
                                        ; implicit-def: $vgpr35
	s_andn2_saveexec_b64 s[8:9], s[8:9]
	s_cbranch_execnz .LBB0_140
.LBB0_254:
	s_or_b64 exec, exec, s[8:9]
	s_waitcnt vmcnt(0) lgkmcnt(0)
	s_setpc_b64 s[30:31]
.Lfunc_end0:
	.size	_ZNK8migraphx13basic_printerIZNS_4coutEvEUlT_E_ElsEPKc, .Lfunc_end0-_ZNK8migraphx13basic_printerIZNS_4coutEvEUlT_E_ElsEPKc
                                        ; -- End function
	.section	.AMDGPU.csdata,"",@progbits
; Function info:
; codeLenInByte = 8900
; NumSgprs: 36
; NumVgprs: 36
; ScratchSize: 0
; MemoryBound: 0
	.text
	.p2align	2                               ; -- Begin function _ZN8migraphx4test12print_streamIKNS_13basic_printerIZNS_4coutEvEUlT_E_EEPiEEvRS3_RKT0_
	.type	_ZN8migraphx4test12print_streamIKNS_13basic_printerIZNS_4coutEvEUlT_E_EEPiEEvRS3_RKT0_,@function
_ZN8migraphx4test12print_streamIKNS_13basic_printerIZNS_4coutEvEUlT_E_EEPiEEvRS3_RKT0_: ; @_ZN8migraphx4test12print_streamIKNS_13basic_printerIZNS_4coutEvEUlT_E_EEPiEEvRS3_RKT0_
; %bb.0:
	s_waitcnt vmcnt(0) expcnt(0) lgkmcnt(0)
	s_load_dwordx2 s[6:7], s[8:9], 0x50
	v_cmp_ne_u64_e32 vcc, 0, v[0:1]
	v_mbcnt_lo_u32_b32 v0, -1, 0
	v_mbcnt_hi_u32_b32 v29, -1, v0
	s_and_saveexec_b64 s[4:5], vcc
	s_xor_b64 s[8:9], exec, s[4:5]
	s_cbranch_execz .LBB1_111
; %bb.1:
	v_readfirstlane_b32 s4, v29
	v_mov_b32_e32 v5, 0
	v_mov_b32_e32 v6, 0
	v_cmp_eq_u32_e64 s[4:5], s4, v29
	s_and_saveexec_b64 s[10:11], s[4:5]
	s_cbranch_execz .LBB1_7
; %bb.2:
	v_mov_b32_e32 v0, 0
	s_waitcnt lgkmcnt(0)
	global_load_dwordx2 v[3:4], v0, s[6:7] offset:24 glc
	s_waitcnt vmcnt(0)
	buffer_wbinvl1_vol
	global_load_dwordx2 v[1:2], v0, s[6:7] offset:40
	global_load_dwordx2 v[5:6], v0, s[6:7]
	s_waitcnt vmcnt(1)
	v_and_b32_e32 v1, v1, v3
	v_and_b32_e32 v2, v2, v4
	v_mul_lo_u32 v2, v2, 24
	v_mul_hi_u32 v7, v1, 24
	v_mul_lo_u32 v1, v1, 24
	v_add_u32_e32 v2, v7, v2
	s_waitcnt vmcnt(0)
	v_add_co_u32_e32 v1, vcc, v5, v1
	v_addc_co_u32_e32 v2, vcc, v6, v2, vcc
	global_load_dwordx2 v[1:2], v[1:2], off glc
	s_waitcnt vmcnt(0)
	global_atomic_cmpswap_x2 v[5:6], v0, v[1:4], s[6:7] offset:24 glc
	s_waitcnt vmcnt(0)
	buffer_wbinvl1_vol
	v_cmp_ne_u64_e32 vcc, v[5:6], v[3:4]
	s_and_saveexec_b64 s[12:13], vcc
	s_cbranch_execz .LBB1_6
; %bb.3:
	s_mov_b64 s[14:15], 0
.LBB1_4:                                ; =>This Inner Loop Header: Depth=1
	s_sleep 1
	global_load_dwordx2 v[1:2], v0, s[6:7] offset:40
	global_load_dwordx2 v[7:8], v0, s[6:7]
	v_mov_b32_e32 v3, v5
	v_mov_b32_e32 v4, v6
	s_waitcnt vmcnt(1)
	v_and_b32_e32 v1, v1, v3
	s_waitcnt vmcnt(0)
	v_mad_u64_u32 v[5:6], s[16:17], v1, 24, v[7:8]
	v_and_b32_e32 v2, v2, v4
	v_mov_b32_e32 v1, v6
	v_mad_u64_u32 v[1:2], s[16:17], v2, 24, v[1:2]
	v_mov_b32_e32 v6, v1
	global_load_dwordx2 v[1:2], v[5:6], off glc
	s_waitcnt vmcnt(0)
	global_atomic_cmpswap_x2 v[5:6], v0, v[1:4], s[6:7] offset:24 glc
	s_waitcnt vmcnt(0)
	buffer_wbinvl1_vol
	v_cmp_eq_u64_e32 vcc, v[5:6], v[3:4]
	s_or_b64 s[14:15], vcc, s[14:15]
	s_andn2_b64 exec, exec, s[14:15]
	s_cbranch_execnz .LBB1_4
; %bb.5:
	s_or_b64 exec, exec, s[14:15]
.LBB1_6:
	s_or_b64 exec, exec, s[12:13]
.LBB1_7:
	s_or_b64 exec, exec, s[10:11]
	v_mov_b32_e32 v4, 0
	s_waitcnt lgkmcnt(0)
	global_load_dwordx2 v[7:8], v4, s[6:7] offset:40
	global_load_dwordx4 v[0:3], v4, s[6:7]
	v_readfirstlane_b32 s10, v5
	v_readfirstlane_b32 s11, v6
	s_mov_b64 s[12:13], exec
	s_waitcnt vmcnt(1)
	v_readfirstlane_b32 s14, v7
	v_readfirstlane_b32 s15, v8
	s_and_b64 s[14:15], s[10:11], s[14:15]
	s_mul_i32 s16, s15, 24
	s_mul_hi_u32 s17, s14, 24
	s_mul_i32 s18, s14, 24
	s_add_i32 s16, s17, s16
	v_mov_b32_e32 v5, s16
	s_waitcnt vmcnt(0)
	v_add_co_u32_e32 v7, vcc, s18, v0
	v_addc_co_u32_e32 v8, vcc, v1, v5, vcc
	s_and_saveexec_b64 s[16:17], s[4:5]
	s_cbranch_execz .LBB1_9
; %bb.8:
	v_mov_b32_e32 v9, s12
	v_mov_b32_e32 v10, s13
	;; [unrolled: 1-line block ×4, first 2 shown]
	global_store_dwordx4 v[7:8], v[9:12], off offset:8
.LBB1_9:
	s_or_b64 exec, exec, s[16:17]
	s_lshl_b64 s[12:13], s[14:15], 12
	v_mov_b32_e32 v5, s13
	v_add_co_u32_e32 v2, vcc, s12, v2
	v_addc_co_u32_e32 v11, vcc, v3, v5, vcc
	s_mov_b32 s12, 0
	v_lshlrev_b32_e32 v30, 6, v29
	v_mov_b32_e32 v3, 33
	v_mov_b32_e32 v5, v4
	;; [unrolled: 1-line block ×3, first 2 shown]
	v_readfirstlane_b32 s16, v2
	v_readfirstlane_b32 s17, v11
	v_add_co_u32_e32 v9, vcc, v2, v30
	s_mov_b32 s13, s12
	s_mov_b32 s14, s12
	;; [unrolled: 1-line block ×3, first 2 shown]
	s_nop 0
	global_store_dwordx4 v30, v[3:6], s[16:17]
	v_mov_b32_e32 v2, s12
	v_addc_co_u32_e32 v10, vcc, 0, v11, vcc
	v_mov_b32_e32 v3, s13
	v_mov_b32_e32 v4, s14
	;; [unrolled: 1-line block ×3, first 2 shown]
	global_store_dwordx4 v30, v[2:5], s[16:17] offset:16
	global_store_dwordx4 v30, v[2:5], s[16:17] offset:32
	;; [unrolled: 1-line block ×3, first 2 shown]
	s_and_saveexec_b64 s[12:13], s[4:5]
	s_cbranch_execz .LBB1_17
; %bb.10:
	v_mov_b32_e32 v6, 0
	global_load_dwordx2 v[13:14], v6, s[6:7] offset:32 glc
	global_load_dwordx2 v[2:3], v6, s[6:7] offset:40
	v_mov_b32_e32 v11, s10
	v_mov_b32_e32 v12, s11
	s_waitcnt vmcnt(0)
	v_and_b32_e32 v2, s10, v2
	v_and_b32_e32 v3, s11, v3
	v_mul_lo_u32 v3, v3, 24
	v_mul_hi_u32 v4, v2, 24
	v_mul_lo_u32 v2, v2, 24
	v_add_u32_e32 v3, v4, v3
	v_add_co_u32_e32 v4, vcc, v0, v2
	v_addc_co_u32_e32 v5, vcc, v1, v3, vcc
	global_store_dwordx2 v[4:5], v[13:14], off
	s_waitcnt vmcnt(0)
	global_atomic_cmpswap_x2 v[2:3], v6, v[11:14], s[6:7] offset:32 glc
	s_waitcnt vmcnt(0)
	v_cmp_ne_u64_e32 vcc, v[2:3], v[13:14]
	s_and_saveexec_b64 s[14:15], vcc
	s_cbranch_execz .LBB1_13
; %bb.11:
	s_mov_b64 s[16:17], 0
.LBB1_12:                               ; =>This Inner Loop Header: Depth=1
	s_sleep 1
	global_store_dwordx2 v[4:5], v[2:3], off
	v_mov_b32_e32 v0, s10
	v_mov_b32_e32 v1, s11
	s_waitcnt vmcnt(0)
	global_atomic_cmpswap_x2 v[0:1], v6, v[0:3], s[6:7] offset:32 glc
	s_waitcnt vmcnt(0)
	v_cmp_eq_u64_e32 vcc, v[0:1], v[2:3]
	v_mov_b32_e32 v3, v1
	s_or_b64 s[16:17], vcc, s[16:17]
	v_mov_b32_e32 v2, v0
	s_andn2_b64 exec, exec, s[16:17]
	s_cbranch_execnz .LBB1_12
.LBB1_13:
	s_or_b64 exec, exec, s[14:15]
	v_mov_b32_e32 v3, 0
	global_load_dwordx2 v[0:1], v3, s[6:7] offset:16
	s_mov_b64 s[14:15], exec
	v_mbcnt_lo_u32_b32 v2, s14, 0
	v_mbcnt_hi_u32_b32 v2, s15, v2
	v_cmp_eq_u32_e32 vcc, 0, v2
	s_and_saveexec_b64 s[16:17], vcc
	s_cbranch_execz .LBB1_15
; %bb.14:
	s_bcnt1_i32_b64 s14, s[14:15]
	v_mov_b32_e32 v2, s14
	s_waitcnt vmcnt(0)
	global_atomic_add_x2 v[0:1], v[2:3], off offset:8
.LBB1_15:
	s_or_b64 exec, exec, s[16:17]
	s_waitcnt vmcnt(0)
	global_load_dwordx2 v[2:3], v[0:1], off offset:16
	s_waitcnt vmcnt(0)
	v_cmp_eq_u64_e32 vcc, 0, v[2:3]
	s_cbranch_vccnz .LBB1_17
; %bb.16:
	global_load_dword v0, v[0:1], off offset:24
	v_mov_b32_e32 v1, 0
	s_waitcnt vmcnt(0)
	global_store_dwordx2 v[2:3], v[0:1], off
	v_and_b32_e32 v0, 0xffffff, v0
	v_readfirstlane_b32 m0, v0
	s_sendmsg sendmsg(MSG_INTERRUPT)
.LBB1_17:
	s_or_b64 exec, exec, s[12:13]
	s_branch .LBB1_21
.LBB1_18:                               ;   in Loop: Header=BB1_21 Depth=1
	s_or_b64 exec, exec, s[12:13]
	v_readfirstlane_b32 s12, v0
	s_cmp_eq_u32 s12, 0
	s_cbranch_scc1 .LBB1_20
; %bb.19:                               ;   in Loop: Header=BB1_21 Depth=1
	s_sleep 1
	s_cbranch_execnz .LBB1_21
	s_branch .LBB1_23
.LBB1_20:
	s_branch .LBB1_23
.LBB1_21:                               ; =>This Inner Loop Header: Depth=1
	v_mov_b32_e32 v0, 1
	s_and_saveexec_b64 s[12:13], s[4:5]
	s_cbranch_execz .LBB1_18
; %bb.22:                               ;   in Loop: Header=BB1_21 Depth=1
	global_load_dword v0, v[7:8], off offset:20 glc
	s_waitcnt vmcnt(0)
	buffer_wbinvl1_vol
	v_and_b32_e32 v0, 1, v0
	s_branch .LBB1_18
.LBB1_23:
	global_load_dwordx2 v[0:1], v[9:10], off
	s_and_saveexec_b64 s[12:13], s[4:5]
	s_cbranch_execz .LBB1_26
; %bb.24:
	v_mov_b32_e32 v8, 0
	global_load_dwordx2 v[4:5], v8, s[6:7] offset:40
	global_load_dwordx2 v[9:10], v8, s[6:7] offset:24 glc
	global_load_dwordx2 v[6:7], v8, s[6:7]
	v_mov_b32_e32 v3, s11
	s_mov_b64 s[4:5], 0
	s_waitcnt vmcnt(2)
	v_add_co_u32_e32 v11, vcc, 1, v4
	v_addc_co_u32_e32 v12, vcc, 0, v5, vcc
	v_add_co_u32_e32 v2, vcc, s10, v11
	v_addc_co_u32_e32 v3, vcc, v12, v3, vcc
	v_cmp_eq_u64_e32 vcc, 0, v[2:3]
	v_cndmask_b32_e32 v3, v3, v12, vcc
	v_cndmask_b32_e32 v2, v2, v11, vcc
	v_and_b32_e32 v5, v3, v5
	v_and_b32_e32 v4, v2, v4
	v_mul_lo_u32 v5, v5, 24
	v_mul_hi_u32 v11, v4, 24
	v_mul_lo_u32 v12, v4, 24
	s_waitcnt vmcnt(1)
	v_mov_b32_e32 v4, v9
	v_add_u32_e32 v5, v11, v5
	s_waitcnt vmcnt(0)
	v_add_co_u32_e32 v6, vcc, v6, v12
	v_addc_co_u32_e32 v7, vcc, v7, v5, vcc
	global_store_dwordx2 v[6:7], v[9:10], off
	v_mov_b32_e32 v5, v10
	s_waitcnt vmcnt(0)
	global_atomic_cmpswap_x2 v[4:5], v8, v[2:5], s[6:7] offset:24 glc
	s_waitcnt vmcnt(0)
	v_cmp_ne_u64_e32 vcc, v[4:5], v[9:10]
	s_and_b64 exec, exec, vcc
	s_cbranch_execz .LBB1_26
.LBB1_25:                               ; =>This Inner Loop Header: Depth=1
	s_sleep 1
	global_store_dwordx2 v[6:7], v[4:5], off
	s_waitcnt vmcnt(0)
	global_atomic_cmpswap_x2 v[9:10], v8, v[2:5], s[6:7] offset:24 glc
	s_waitcnt vmcnt(0)
	v_cmp_eq_u64_e32 vcc, v[9:10], v[4:5]
	v_mov_b32_e32 v4, v9
	s_or_b64 s[4:5], vcc, s[4:5]
	v_mov_b32_e32 v5, v10
	s_andn2_b64 exec, exec, s[4:5]
	s_cbranch_execnz .LBB1_25
.LBB1_26:
	s_or_b64 exec, exec, s[12:13]
	s_getpc_b64 s[10:11]
	s_add_u32 s10, s10, .str.11@rel32@lo+4
	s_addc_u32 s11, s11, .str.11@rel32@hi+12
	s_cmp_lg_u64 s[10:11], 0
	s_cbranch_scc0 .LBB1_223
; %bb.27:
	s_waitcnt vmcnt(0)
	v_and_b32_e32 v6, -3, v0
	v_mov_b32_e32 v7, v1
	s_mov_b64 s[12:13], 5
	v_mov_b32_e32 v26, 0
	v_mov_b32_e32 v4, 2
	;; [unrolled: 1-line block ×3, first 2 shown]
	s_branch .LBB1_29
.LBB1_28:                               ;   in Loop: Header=BB1_29 Depth=1
	s_or_b64 exec, exec, s[18:19]
	s_sub_u32 s12, s12, s14
	s_subb_u32 s13, s13, s15
	s_add_u32 s10, s10, s14
	s_addc_u32 s11, s11, s15
	s_cmp_eq_u64 s[12:13], 0
	s_cbranch_scc1 .LBB1_110
.LBB1_29:                               ; =>This Loop Header: Depth=1
                                        ;     Child Loop BB1_32 Depth 2
                                        ;     Child Loop BB1_39 Depth 2
	;; [unrolled: 1-line block ×11, first 2 shown]
	v_cmp_lt_u64_e64 s[4:5], s[12:13], 56
	v_cmp_gt_u64_e64 s[16:17], s[12:13], 7
	s_and_b64 s[4:5], s[4:5], exec
	s_cselect_b32 s15, s13, 0
	s_cselect_b32 s14, s12, 56
	s_and_b64 vcc, exec, s[16:17]
	s_cbranch_vccnz .LBB1_34
; %bb.30:                               ;   in Loop: Header=BB1_29 Depth=1
	s_waitcnt vmcnt(0)
	v_mov_b32_e32 v8, 0
	s_cmp_eq_u64 s[12:13], 0
	v_mov_b32_e32 v9, 0
	s_mov_b64 s[4:5], 0
	s_cbranch_scc1 .LBB1_33
; %bb.31:                               ;   in Loop: Header=BB1_29 Depth=1
	v_mov_b32_e32 v8, 0
	s_lshl_b64 s[16:17], s[14:15], 3
	s_mov_b64 s[18:19], 0
	v_mov_b32_e32 v9, 0
	s_mov_b64 s[20:21], s[10:11]
.LBB1_32:                               ;   Parent Loop BB1_29 Depth=1
                                        ; =>  This Inner Loop Header: Depth=2
	global_load_ubyte v2, v26, s[20:21]
	s_waitcnt vmcnt(0)
	v_and_b32_e32 v25, 0xffff, v2
	v_lshlrev_b64 v[2:3], s18, v[25:26]
	s_add_u32 s18, s18, 8
	s_addc_u32 s19, s19, 0
	s_add_u32 s20, s20, 1
	s_addc_u32 s21, s21, 0
	v_or_b32_e32 v8, v2, v8
	s_cmp_lg_u32 s16, s18
	v_or_b32_e32 v9, v3, v9
	s_cbranch_scc1 .LBB1_32
.LBB1_33:                               ;   in Loop: Header=BB1_29 Depth=1
	s_mov_b32 s20, 0
	s_andn2_b64 vcc, exec, s[4:5]
	s_mov_b64 s[4:5], s[10:11]
	s_cbranch_vccz .LBB1_35
	s_branch .LBB1_36
.LBB1_34:                               ;   in Loop: Header=BB1_29 Depth=1
                                        ; implicit-def: $sgpr20
	s_mov_b64 s[4:5], s[10:11]
.LBB1_35:                               ;   in Loop: Header=BB1_29 Depth=1
	global_load_dwordx2 v[8:9], v26, s[10:11]
	s_add_i32 s20, s14, -8
	s_add_u32 s4, s10, 8
	s_addc_u32 s5, s11, 0
.LBB1_36:                               ;   in Loop: Header=BB1_29 Depth=1
	s_cmp_gt_u32 s20, 7
	s_cbranch_scc1 .LBB1_40
; %bb.37:                               ;   in Loop: Header=BB1_29 Depth=1
	s_cmp_eq_u32 s20, 0
	s_cbranch_scc1 .LBB1_41
; %bb.38:                               ;   in Loop: Header=BB1_29 Depth=1
	v_mov_b32_e32 v10, 0
	s_mov_b64 s[16:17], 0
	v_mov_b32_e32 v11, 0
	s_mov_b64 s[18:19], 0
.LBB1_39:                               ;   Parent Loop BB1_29 Depth=1
                                        ; =>  This Inner Loop Header: Depth=2
	s_add_u32 s22, s4, s18
	s_addc_u32 s23, s5, s19
	global_load_ubyte v2, v26, s[22:23]
	s_add_u32 s18, s18, 1
	s_addc_u32 s19, s19, 0
	s_waitcnt vmcnt(0)
	v_and_b32_e32 v25, 0xffff, v2
	v_lshlrev_b64 v[2:3], s16, v[25:26]
	s_add_u32 s16, s16, 8
	s_addc_u32 s17, s17, 0
	v_or_b32_e32 v10, v2, v10
	s_cmp_lg_u32 s20, s18
	v_or_b32_e32 v11, v3, v11
	s_cbranch_scc1 .LBB1_39
	s_branch .LBB1_42
.LBB1_40:                               ;   in Loop: Header=BB1_29 Depth=1
                                        ; implicit-def: $vgpr10_vgpr11
                                        ; implicit-def: $sgpr21
	s_branch .LBB1_43
.LBB1_41:                               ;   in Loop: Header=BB1_29 Depth=1
	v_mov_b32_e32 v10, 0
	v_mov_b32_e32 v11, 0
.LBB1_42:                               ;   in Loop: Header=BB1_29 Depth=1
	s_mov_b32 s21, 0
	s_cbranch_execnz .LBB1_44
.LBB1_43:                               ;   in Loop: Header=BB1_29 Depth=1
	global_load_dwordx2 v[10:11], v26, s[4:5]
	s_add_i32 s21, s20, -8
	s_add_u32 s4, s4, 8
	s_addc_u32 s5, s5, 0
.LBB1_44:                               ;   in Loop: Header=BB1_29 Depth=1
	s_cmp_gt_u32 s21, 7
	s_cbranch_scc1 .LBB1_48
; %bb.45:                               ;   in Loop: Header=BB1_29 Depth=1
	s_cmp_eq_u32 s21, 0
	s_cbranch_scc1 .LBB1_49
; %bb.46:                               ;   in Loop: Header=BB1_29 Depth=1
	v_mov_b32_e32 v12, 0
	s_mov_b64 s[16:17], 0
	v_mov_b32_e32 v13, 0
	s_mov_b64 s[18:19], 0
.LBB1_47:                               ;   Parent Loop BB1_29 Depth=1
                                        ; =>  This Inner Loop Header: Depth=2
	s_add_u32 s22, s4, s18
	s_addc_u32 s23, s5, s19
	global_load_ubyte v2, v26, s[22:23]
	s_add_u32 s18, s18, 1
	s_addc_u32 s19, s19, 0
	s_waitcnt vmcnt(0)
	v_and_b32_e32 v25, 0xffff, v2
	v_lshlrev_b64 v[2:3], s16, v[25:26]
	s_add_u32 s16, s16, 8
	s_addc_u32 s17, s17, 0
	v_or_b32_e32 v12, v2, v12
	s_cmp_lg_u32 s21, s18
	v_or_b32_e32 v13, v3, v13
	s_cbranch_scc1 .LBB1_47
	s_branch .LBB1_50
.LBB1_48:                               ;   in Loop: Header=BB1_29 Depth=1
                                        ; implicit-def: $sgpr20
	s_branch .LBB1_51
.LBB1_49:                               ;   in Loop: Header=BB1_29 Depth=1
	v_mov_b32_e32 v12, 0
	v_mov_b32_e32 v13, 0
.LBB1_50:                               ;   in Loop: Header=BB1_29 Depth=1
	s_mov_b32 s20, 0
	s_cbranch_execnz .LBB1_52
.LBB1_51:                               ;   in Loop: Header=BB1_29 Depth=1
	global_load_dwordx2 v[12:13], v26, s[4:5]
	s_add_i32 s20, s21, -8
	s_add_u32 s4, s4, 8
	s_addc_u32 s5, s5, 0
.LBB1_52:                               ;   in Loop: Header=BB1_29 Depth=1
	s_cmp_gt_u32 s20, 7
	s_cbranch_scc1 .LBB1_56
; %bb.53:                               ;   in Loop: Header=BB1_29 Depth=1
	s_cmp_eq_u32 s20, 0
	s_cbranch_scc1 .LBB1_57
; %bb.54:                               ;   in Loop: Header=BB1_29 Depth=1
	v_mov_b32_e32 v14, 0
	s_mov_b64 s[16:17], 0
	v_mov_b32_e32 v15, 0
	s_mov_b64 s[18:19], 0
.LBB1_55:                               ;   Parent Loop BB1_29 Depth=1
                                        ; =>  This Inner Loop Header: Depth=2
	s_add_u32 s22, s4, s18
	s_addc_u32 s23, s5, s19
	global_load_ubyte v2, v26, s[22:23]
	s_add_u32 s18, s18, 1
	s_addc_u32 s19, s19, 0
	s_waitcnt vmcnt(0)
	v_and_b32_e32 v25, 0xffff, v2
	v_lshlrev_b64 v[2:3], s16, v[25:26]
	s_add_u32 s16, s16, 8
	s_addc_u32 s17, s17, 0
	v_or_b32_e32 v14, v2, v14
	s_cmp_lg_u32 s20, s18
	v_or_b32_e32 v15, v3, v15
	s_cbranch_scc1 .LBB1_55
	s_branch .LBB1_58
.LBB1_56:                               ;   in Loop: Header=BB1_29 Depth=1
                                        ; implicit-def: $vgpr14_vgpr15
                                        ; implicit-def: $sgpr21
	s_branch .LBB1_59
.LBB1_57:                               ;   in Loop: Header=BB1_29 Depth=1
	v_mov_b32_e32 v14, 0
	v_mov_b32_e32 v15, 0
.LBB1_58:                               ;   in Loop: Header=BB1_29 Depth=1
	s_mov_b32 s21, 0
	s_cbranch_execnz .LBB1_60
.LBB1_59:                               ;   in Loop: Header=BB1_29 Depth=1
	global_load_dwordx2 v[14:15], v26, s[4:5]
	s_add_i32 s21, s20, -8
	s_add_u32 s4, s4, 8
	s_addc_u32 s5, s5, 0
.LBB1_60:                               ;   in Loop: Header=BB1_29 Depth=1
	s_cmp_gt_u32 s21, 7
	s_cbranch_scc1 .LBB1_64
; %bb.61:                               ;   in Loop: Header=BB1_29 Depth=1
	s_cmp_eq_u32 s21, 0
	s_cbranch_scc1 .LBB1_65
; %bb.62:                               ;   in Loop: Header=BB1_29 Depth=1
	v_mov_b32_e32 v16, 0
	s_mov_b64 s[16:17], 0
	v_mov_b32_e32 v17, 0
	s_mov_b64 s[18:19], 0
.LBB1_63:                               ;   Parent Loop BB1_29 Depth=1
                                        ; =>  This Inner Loop Header: Depth=2
	s_add_u32 s22, s4, s18
	s_addc_u32 s23, s5, s19
	global_load_ubyte v2, v26, s[22:23]
	s_add_u32 s18, s18, 1
	s_addc_u32 s19, s19, 0
	s_waitcnt vmcnt(0)
	v_and_b32_e32 v25, 0xffff, v2
	v_lshlrev_b64 v[2:3], s16, v[25:26]
	s_add_u32 s16, s16, 8
	s_addc_u32 s17, s17, 0
	v_or_b32_e32 v16, v2, v16
	s_cmp_lg_u32 s21, s18
	v_or_b32_e32 v17, v3, v17
	s_cbranch_scc1 .LBB1_63
	s_branch .LBB1_66
.LBB1_64:                               ;   in Loop: Header=BB1_29 Depth=1
                                        ; implicit-def: $sgpr20
	s_branch .LBB1_67
.LBB1_65:                               ;   in Loop: Header=BB1_29 Depth=1
	v_mov_b32_e32 v16, 0
	v_mov_b32_e32 v17, 0
.LBB1_66:                               ;   in Loop: Header=BB1_29 Depth=1
	s_mov_b32 s20, 0
	s_cbranch_execnz .LBB1_68
.LBB1_67:                               ;   in Loop: Header=BB1_29 Depth=1
	global_load_dwordx2 v[16:17], v26, s[4:5]
	s_add_i32 s20, s21, -8
	s_add_u32 s4, s4, 8
	s_addc_u32 s5, s5, 0
.LBB1_68:                               ;   in Loop: Header=BB1_29 Depth=1
	s_cmp_gt_u32 s20, 7
	s_cbranch_scc1 .LBB1_72
; %bb.69:                               ;   in Loop: Header=BB1_29 Depth=1
	s_cmp_eq_u32 s20, 0
	s_cbranch_scc1 .LBB1_73
; %bb.70:                               ;   in Loop: Header=BB1_29 Depth=1
	v_mov_b32_e32 v18, 0
	s_mov_b64 s[16:17], 0
	v_mov_b32_e32 v19, 0
	s_mov_b64 s[18:19], 0
.LBB1_71:                               ;   Parent Loop BB1_29 Depth=1
                                        ; =>  This Inner Loop Header: Depth=2
	s_add_u32 s22, s4, s18
	s_addc_u32 s23, s5, s19
	global_load_ubyte v2, v26, s[22:23]
	s_add_u32 s18, s18, 1
	s_addc_u32 s19, s19, 0
	s_waitcnt vmcnt(0)
	v_and_b32_e32 v25, 0xffff, v2
	v_lshlrev_b64 v[2:3], s16, v[25:26]
	s_add_u32 s16, s16, 8
	s_addc_u32 s17, s17, 0
	v_or_b32_e32 v18, v2, v18
	s_cmp_lg_u32 s20, s18
	v_or_b32_e32 v19, v3, v19
	s_cbranch_scc1 .LBB1_71
	s_branch .LBB1_74
.LBB1_72:                               ;   in Loop: Header=BB1_29 Depth=1
                                        ; implicit-def: $vgpr18_vgpr19
                                        ; implicit-def: $sgpr21
	s_branch .LBB1_75
.LBB1_73:                               ;   in Loop: Header=BB1_29 Depth=1
	v_mov_b32_e32 v18, 0
	v_mov_b32_e32 v19, 0
.LBB1_74:                               ;   in Loop: Header=BB1_29 Depth=1
	s_mov_b32 s21, 0
	s_cbranch_execnz .LBB1_76
.LBB1_75:                               ;   in Loop: Header=BB1_29 Depth=1
	global_load_dwordx2 v[18:19], v26, s[4:5]
	s_add_i32 s21, s20, -8
	s_add_u32 s4, s4, 8
	s_addc_u32 s5, s5, 0
.LBB1_76:                               ;   in Loop: Header=BB1_29 Depth=1
	s_cmp_gt_u32 s21, 7
	s_cbranch_scc1 .LBB1_80
; %bb.77:                               ;   in Loop: Header=BB1_29 Depth=1
	s_cmp_eq_u32 s21, 0
	s_cbranch_scc1 .LBB1_81
; %bb.78:                               ;   in Loop: Header=BB1_29 Depth=1
	v_mov_b32_e32 v20, 0
	s_mov_b64 s[16:17], 0
	v_mov_b32_e32 v21, 0
	s_mov_b64 s[18:19], s[4:5]
.LBB1_79:                               ;   Parent Loop BB1_29 Depth=1
                                        ; =>  This Inner Loop Header: Depth=2
	global_load_ubyte v2, v26, s[18:19]
	s_add_i32 s21, s21, -1
	s_waitcnt vmcnt(0)
	v_and_b32_e32 v25, 0xffff, v2
	v_lshlrev_b64 v[2:3], s16, v[25:26]
	s_add_u32 s16, s16, 8
	s_addc_u32 s17, s17, 0
	s_add_u32 s18, s18, 1
	s_addc_u32 s19, s19, 0
	v_or_b32_e32 v20, v2, v20
	s_cmp_lg_u32 s21, 0
	v_or_b32_e32 v21, v3, v21
	s_cbranch_scc1 .LBB1_79
	s_branch .LBB1_82
.LBB1_80:                               ;   in Loop: Header=BB1_29 Depth=1
	s_branch .LBB1_83
.LBB1_81:                               ;   in Loop: Header=BB1_29 Depth=1
	v_mov_b32_e32 v20, 0
	v_mov_b32_e32 v21, 0
.LBB1_82:                               ;   in Loop: Header=BB1_29 Depth=1
	s_cbranch_execnz .LBB1_84
.LBB1_83:                               ;   in Loop: Header=BB1_29 Depth=1
	global_load_dwordx2 v[20:21], v26, s[4:5]
.LBB1_84:                               ;   in Loop: Header=BB1_29 Depth=1
	v_readfirstlane_b32 s4, v29
	v_mov_b32_e32 v2, 0
	v_mov_b32_e32 v3, 0
	v_cmp_eq_u32_e64 s[4:5], s4, v29
	s_and_saveexec_b64 s[16:17], s[4:5]
	s_cbranch_execz .LBB1_90
; %bb.85:                               ;   in Loop: Header=BB1_29 Depth=1
	global_load_dwordx2 v[24:25], v26, s[6:7] offset:24 glc
	s_waitcnt vmcnt(0)
	buffer_wbinvl1_vol
	global_load_dwordx2 v[2:3], v26, s[6:7] offset:40
	global_load_dwordx2 v[22:23], v26, s[6:7]
	s_waitcnt vmcnt(1)
	v_and_b32_e32 v2, v2, v24
	v_and_b32_e32 v3, v3, v25
	v_mul_lo_u32 v3, v3, 24
	v_mul_hi_u32 v27, v2, 24
	v_mul_lo_u32 v2, v2, 24
	v_add_u32_e32 v3, v27, v3
	s_waitcnt vmcnt(0)
	v_add_co_u32_e32 v2, vcc, v22, v2
	v_addc_co_u32_e32 v3, vcc, v23, v3, vcc
	global_load_dwordx2 v[22:23], v[2:3], off glc
	s_waitcnt vmcnt(0)
	global_atomic_cmpswap_x2 v[2:3], v26, v[22:25], s[6:7] offset:24 glc
	s_waitcnt vmcnt(0)
	buffer_wbinvl1_vol
	v_cmp_ne_u64_e32 vcc, v[2:3], v[24:25]
	s_and_saveexec_b64 s[18:19], vcc
	s_cbranch_execz .LBB1_89
; %bb.86:                               ;   in Loop: Header=BB1_29 Depth=1
	s_mov_b64 s[20:21], 0
.LBB1_87:                               ;   Parent Loop BB1_29 Depth=1
                                        ; =>  This Inner Loop Header: Depth=2
	s_sleep 1
	global_load_dwordx2 v[22:23], v26, s[6:7] offset:40
	global_load_dwordx2 v[27:28], v26, s[6:7]
	v_mov_b32_e32 v25, v3
	v_mov_b32_e32 v24, v2
	s_waitcnt vmcnt(1)
	v_and_b32_e32 v2, v22, v24
	s_waitcnt vmcnt(0)
	v_mad_u64_u32 v[2:3], s[22:23], v2, 24, v[27:28]
	v_and_b32_e32 v22, v23, v25
	v_mad_u64_u32 v[22:23], s[22:23], v22, 24, v[3:4]
	v_mov_b32_e32 v3, v22
	global_load_dwordx2 v[22:23], v[2:3], off glc
	s_waitcnt vmcnt(0)
	global_atomic_cmpswap_x2 v[2:3], v26, v[22:25], s[6:7] offset:24 glc
	s_waitcnt vmcnt(0)
	buffer_wbinvl1_vol
	v_cmp_eq_u64_e32 vcc, v[2:3], v[24:25]
	s_or_b64 s[20:21], vcc, s[20:21]
	s_andn2_b64 exec, exec, s[20:21]
	s_cbranch_execnz .LBB1_87
; %bb.88:                               ;   in Loop: Header=BB1_29 Depth=1
	s_or_b64 exec, exec, s[20:21]
.LBB1_89:                               ;   in Loop: Header=BB1_29 Depth=1
	s_or_b64 exec, exec, s[18:19]
.LBB1_90:                               ;   in Loop: Header=BB1_29 Depth=1
	s_or_b64 exec, exec, s[16:17]
	global_load_dwordx2 v[27:28], v26, s[6:7] offset:40
	global_load_dwordx4 v[22:25], v26, s[6:7]
	v_readfirstlane_b32 s16, v2
	v_readfirstlane_b32 s17, v3
	s_mov_b64 s[18:19], exec
	s_waitcnt vmcnt(1)
	v_readfirstlane_b32 s20, v27
	v_readfirstlane_b32 s21, v28
	s_and_b64 s[20:21], s[16:17], s[20:21]
	s_mul_i32 s22, s21, 24
	s_mul_hi_u32 s23, s20, 24
	s_mul_i32 s24, s20, 24
	s_add_i32 s22, s23, s22
	v_mov_b32_e32 v2, s22
	s_waitcnt vmcnt(0)
	v_add_co_u32_e32 v27, vcc, s24, v22
	v_addc_co_u32_e32 v28, vcc, v23, v2, vcc
	s_and_saveexec_b64 s[22:23], s[4:5]
	s_cbranch_execz .LBB1_92
; %bb.91:                               ;   in Loop: Header=BB1_29 Depth=1
	v_mov_b32_e32 v2, s18
	v_mov_b32_e32 v3, s19
	global_store_dwordx4 v[27:28], v[2:5], off offset:8
.LBB1_92:                               ;   in Loop: Header=BB1_29 Depth=1
	s_or_b64 exec, exec, s[22:23]
	s_lshl_b64 s[18:19], s[20:21], 12
	v_mov_b32_e32 v2, s19
	v_add_co_u32_e32 v24, vcc, s18, v24
	v_addc_co_u32_e32 v31, vcc, v25, v2, vcc
	v_cmp_gt_u64_e64 vcc, s[12:13], 56
	v_or_b32_e32 v2, 2, v6
	s_lshl_b32 s18, s14, 2
	v_cndmask_b32_e32 v2, v2, v6, vcc
	s_add_i32 s18, s18, 28
	s_and_b32 s18, s18, 0x1e0
	v_and_b32_e32 v2, 0xffffff1f, v2
	v_or_b32_e32 v6, s18, v2
	v_readfirstlane_b32 s18, v24
	v_readfirstlane_b32 s19, v31
	s_nop 4
	global_store_dwordx4 v30, v[6:9], s[18:19]
	global_store_dwordx4 v30, v[10:13], s[18:19] offset:16
	global_store_dwordx4 v30, v[14:17], s[18:19] offset:32
	;; [unrolled: 1-line block ×3, first 2 shown]
	s_and_saveexec_b64 s[18:19], s[4:5]
	s_cbranch_execz .LBB1_100
; %bb.93:                               ;   in Loop: Header=BB1_29 Depth=1
	global_load_dwordx2 v[10:11], v26, s[6:7] offset:32 glc
	global_load_dwordx2 v[2:3], v26, s[6:7] offset:40
	v_mov_b32_e32 v8, s16
	v_mov_b32_e32 v9, s17
	s_waitcnt vmcnt(0)
	v_readfirstlane_b32 s20, v2
	v_readfirstlane_b32 s21, v3
	s_and_b64 s[20:21], s[20:21], s[16:17]
	s_mul_i32 s21, s21, 24
	s_mul_hi_u32 s22, s20, 24
	s_mul_i32 s20, s20, 24
	s_add_i32 s21, s22, s21
	v_mov_b32_e32 v3, s21
	v_add_co_u32_e32 v2, vcc, s20, v22
	v_addc_co_u32_e32 v3, vcc, v23, v3, vcc
	global_store_dwordx2 v[2:3], v[10:11], off
	s_waitcnt vmcnt(0)
	global_atomic_cmpswap_x2 v[8:9], v26, v[8:11], s[6:7] offset:32 glc
	s_waitcnt vmcnt(0)
	v_cmp_ne_u64_e32 vcc, v[8:9], v[10:11]
	s_and_saveexec_b64 s[20:21], vcc
	s_cbranch_execz .LBB1_96
; %bb.94:                               ;   in Loop: Header=BB1_29 Depth=1
	s_mov_b64 s[22:23], 0
.LBB1_95:                               ;   Parent Loop BB1_29 Depth=1
                                        ; =>  This Inner Loop Header: Depth=2
	s_sleep 1
	global_store_dwordx2 v[2:3], v[8:9], off
	v_mov_b32_e32 v6, s16
	v_mov_b32_e32 v7, s17
	s_waitcnt vmcnt(0)
	global_atomic_cmpswap_x2 v[6:7], v26, v[6:9], s[6:7] offset:32 glc
	s_waitcnt vmcnt(0)
	v_cmp_eq_u64_e32 vcc, v[6:7], v[8:9]
	v_mov_b32_e32 v9, v7
	s_or_b64 s[22:23], vcc, s[22:23]
	v_mov_b32_e32 v8, v6
	s_andn2_b64 exec, exec, s[22:23]
	s_cbranch_execnz .LBB1_95
.LBB1_96:                               ;   in Loop: Header=BB1_29 Depth=1
	s_or_b64 exec, exec, s[20:21]
	global_load_dwordx2 v[2:3], v26, s[6:7] offset:16
	s_mov_b64 s[22:23], exec
	v_mbcnt_lo_u32_b32 v6, s22, 0
	v_mbcnt_hi_u32_b32 v6, s23, v6
	v_cmp_eq_u32_e32 vcc, 0, v6
	s_and_saveexec_b64 s[20:21], vcc
	s_cbranch_execz .LBB1_98
; %bb.97:                               ;   in Loop: Header=BB1_29 Depth=1
	s_bcnt1_i32_b64 s22, s[22:23]
	v_mov_b32_e32 v25, s22
	s_waitcnt vmcnt(0)
	global_atomic_add_x2 v[2:3], v[25:26], off offset:8
.LBB1_98:                               ;   in Loop: Header=BB1_29 Depth=1
	s_or_b64 exec, exec, s[20:21]
	s_waitcnt vmcnt(0)
	global_load_dwordx2 v[6:7], v[2:3], off offset:16
	s_waitcnt vmcnt(0)
	v_cmp_eq_u64_e32 vcc, 0, v[6:7]
	s_cbranch_vccnz .LBB1_100
; %bb.99:                               ;   in Loop: Header=BB1_29 Depth=1
	global_load_dword v25, v[2:3], off offset:24
	s_waitcnt vmcnt(0)
	v_and_b32_e32 v2, 0xffffff, v25
	v_readfirstlane_b32 m0, v2
	global_store_dwordx2 v[6:7], v[25:26], off
	s_sendmsg sendmsg(MSG_INTERRUPT)
.LBB1_100:                              ;   in Loop: Header=BB1_29 Depth=1
	s_or_b64 exec, exec, s[18:19]
	v_add_co_u32_e32 v2, vcc, v24, v30
	v_addc_co_u32_e32 v3, vcc, 0, v31, vcc
	s_branch .LBB1_104
.LBB1_101:                              ;   in Loop: Header=BB1_104 Depth=2
	s_or_b64 exec, exec, s[18:19]
	v_readfirstlane_b32 s18, v6
	s_cmp_eq_u32 s18, 0
	s_cbranch_scc1 .LBB1_103
; %bb.102:                              ;   in Loop: Header=BB1_104 Depth=2
	s_sleep 1
	s_cbranch_execnz .LBB1_104
	s_branch .LBB1_106
.LBB1_103:                              ;   in Loop: Header=BB1_29 Depth=1
	s_branch .LBB1_106
.LBB1_104:                              ;   Parent Loop BB1_29 Depth=1
                                        ; =>  This Inner Loop Header: Depth=2
	v_mov_b32_e32 v6, 1
	s_and_saveexec_b64 s[18:19], s[4:5]
	s_cbranch_execz .LBB1_101
; %bb.105:                              ;   in Loop: Header=BB1_104 Depth=2
	global_load_dword v6, v[27:28], off offset:20 glc
	s_waitcnt vmcnt(0)
	buffer_wbinvl1_vol
	v_and_b32_e32 v6, 1, v6
	s_branch .LBB1_101
.LBB1_106:                              ;   in Loop: Header=BB1_29 Depth=1
	global_load_dwordx4 v[6:9], v[2:3], off
	s_and_saveexec_b64 s[18:19], s[4:5]
	s_cbranch_execz .LBB1_28
; %bb.107:                              ;   in Loop: Header=BB1_29 Depth=1
	global_load_dwordx2 v[2:3], v26, s[6:7] offset:40
	global_load_dwordx2 v[12:13], v26, s[6:7] offset:24 glc
	global_load_dwordx2 v[14:15], v26, s[6:7]
	s_waitcnt vmcnt(3)
	v_mov_b32_e32 v9, s17
	s_waitcnt vmcnt(2)
	v_add_co_u32_e32 v10, vcc, 1, v2
	v_addc_co_u32_e32 v11, vcc, 0, v3, vcc
	v_add_co_u32_e32 v8, vcc, s16, v10
	v_addc_co_u32_e32 v9, vcc, v11, v9, vcc
	v_cmp_eq_u64_e32 vcc, 0, v[8:9]
	v_cndmask_b32_e32 v9, v9, v11, vcc
	v_cndmask_b32_e32 v8, v8, v10, vcc
	v_and_b32_e32 v3, v9, v3
	v_and_b32_e32 v2, v8, v2
	v_mul_lo_u32 v3, v3, 24
	v_mul_hi_u32 v11, v2, 24
	v_mul_lo_u32 v2, v2, 24
	s_waitcnt vmcnt(1)
	v_mov_b32_e32 v10, v12
	v_add_u32_e32 v3, v11, v3
	s_waitcnt vmcnt(0)
	v_add_co_u32_e32 v2, vcc, v14, v2
	v_addc_co_u32_e32 v3, vcc, v15, v3, vcc
	global_store_dwordx2 v[2:3], v[12:13], off
	v_mov_b32_e32 v11, v13
	s_waitcnt vmcnt(0)
	global_atomic_cmpswap_x2 v[10:11], v26, v[8:11], s[6:7] offset:24 glc
	s_waitcnt vmcnt(0)
	v_cmp_ne_u64_e32 vcc, v[10:11], v[12:13]
	s_and_b64 exec, exec, vcc
	s_cbranch_execz .LBB1_28
; %bb.108:                              ;   in Loop: Header=BB1_29 Depth=1
	s_mov_b64 s[4:5], 0
.LBB1_109:                              ;   Parent Loop BB1_29 Depth=1
                                        ; =>  This Inner Loop Header: Depth=2
	s_sleep 1
	global_store_dwordx2 v[2:3], v[10:11], off
	s_waitcnt vmcnt(0)
	global_atomic_cmpswap_x2 v[12:13], v26, v[8:11], s[6:7] offset:24 glc
	s_waitcnt vmcnt(0)
	v_cmp_eq_u64_e32 vcc, v[12:13], v[10:11]
	v_mov_b32_e32 v10, v12
	s_or_b64 s[4:5], vcc, s[4:5]
	v_mov_b32_e32 v11, v13
	s_andn2_b64 exec, exec, s[4:5]
	s_cbranch_execnz .LBB1_109
	s_branch .LBB1_28
.LBB1_110:
.LBB1_111:
	s_andn2_saveexec_b64 s[8:9], s[8:9]
	s_cbranch_execz .LBB1_222
.LBB1_112:
	v_readfirstlane_b32 s4, v29
	s_waitcnt vmcnt(0)
	v_mov_b32_e32 v5, 0
	v_mov_b32_e32 v6, 0
	v_cmp_eq_u32_e64 s[4:5], s4, v29
	s_and_saveexec_b64 s[10:11], s[4:5]
	s_cbranch_execz .LBB1_118
; %bb.113:
	v_mov_b32_e32 v0, 0
	s_waitcnt lgkmcnt(0)
	global_load_dwordx2 v[3:4], v0, s[6:7] offset:24 glc
	s_waitcnt vmcnt(0)
	buffer_wbinvl1_vol
	global_load_dwordx2 v[1:2], v0, s[6:7] offset:40
	global_load_dwordx2 v[5:6], v0, s[6:7]
	s_waitcnt vmcnt(1)
	v_and_b32_e32 v1, v1, v3
	v_and_b32_e32 v2, v2, v4
	v_mul_lo_u32 v2, v2, 24
	v_mul_hi_u32 v7, v1, 24
	v_mul_lo_u32 v1, v1, 24
	v_add_u32_e32 v2, v7, v2
	s_waitcnt vmcnt(0)
	v_add_co_u32_e32 v1, vcc, v5, v1
	v_addc_co_u32_e32 v2, vcc, v6, v2, vcc
	global_load_dwordx2 v[1:2], v[1:2], off glc
	s_waitcnt vmcnt(0)
	global_atomic_cmpswap_x2 v[5:6], v0, v[1:4], s[6:7] offset:24 glc
	s_waitcnt vmcnt(0)
	buffer_wbinvl1_vol
	v_cmp_ne_u64_e32 vcc, v[5:6], v[3:4]
	s_and_saveexec_b64 s[12:13], vcc
	s_cbranch_execz .LBB1_117
; %bb.114:
	s_mov_b64 s[14:15], 0
.LBB1_115:                              ; =>This Inner Loop Header: Depth=1
	s_sleep 1
	global_load_dwordx2 v[1:2], v0, s[6:7] offset:40
	global_load_dwordx2 v[7:8], v0, s[6:7]
	v_mov_b32_e32 v3, v5
	v_mov_b32_e32 v4, v6
	s_waitcnt vmcnt(1)
	v_and_b32_e32 v1, v1, v3
	s_waitcnt vmcnt(0)
	v_mad_u64_u32 v[5:6], s[16:17], v1, 24, v[7:8]
	v_and_b32_e32 v2, v2, v4
	v_mov_b32_e32 v1, v6
	v_mad_u64_u32 v[1:2], s[16:17], v2, 24, v[1:2]
	v_mov_b32_e32 v6, v1
	global_load_dwordx2 v[1:2], v[5:6], off glc
	s_waitcnt vmcnt(0)
	global_atomic_cmpswap_x2 v[5:6], v0, v[1:4], s[6:7] offset:24 glc
	s_waitcnt vmcnt(0)
	buffer_wbinvl1_vol
	v_cmp_eq_u64_e32 vcc, v[5:6], v[3:4]
	s_or_b64 s[14:15], vcc, s[14:15]
	s_andn2_b64 exec, exec, s[14:15]
	s_cbranch_execnz .LBB1_115
; %bb.116:
	s_or_b64 exec, exec, s[14:15]
.LBB1_117:
	s_or_b64 exec, exec, s[12:13]
.LBB1_118:
	s_or_b64 exec, exec, s[10:11]
	v_mov_b32_e32 v4, 0
	s_waitcnt lgkmcnt(0)
	global_load_dwordx2 v[7:8], v4, s[6:7] offset:40
	global_load_dwordx4 v[0:3], v4, s[6:7]
	v_readfirstlane_b32 s10, v5
	v_readfirstlane_b32 s11, v6
	s_mov_b64 s[12:13], exec
	s_waitcnt vmcnt(1)
	v_readfirstlane_b32 s14, v7
	v_readfirstlane_b32 s15, v8
	s_and_b64 s[14:15], s[10:11], s[14:15]
	s_mul_i32 s16, s15, 24
	s_mul_hi_u32 s17, s14, 24
	s_mul_i32 s18, s14, 24
	s_add_i32 s16, s17, s16
	v_mov_b32_e32 v5, s16
	s_waitcnt vmcnt(0)
	v_add_co_u32_e32 v7, vcc, s18, v0
	v_addc_co_u32_e32 v8, vcc, v1, v5, vcc
	s_and_saveexec_b64 s[16:17], s[4:5]
	s_cbranch_execz .LBB1_120
; %bb.119:
	v_mov_b32_e32 v9, s12
	v_mov_b32_e32 v10, s13
	;; [unrolled: 1-line block ×4, first 2 shown]
	global_store_dwordx4 v[7:8], v[9:12], off offset:8
.LBB1_120:
	s_or_b64 exec, exec, s[16:17]
	s_lshl_b64 s[12:13], s[14:15], 12
	v_mov_b32_e32 v5, s13
	v_add_co_u32_e32 v2, vcc, s12, v2
	v_addc_co_u32_e32 v11, vcc, v3, v5, vcc
	s_mov_b32 s12, 0
	v_lshlrev_b32_e32 v30, 6, v29
	v_mov_b32_e32 v3, 33
	v_mov_b32_e32 v5, v4
	;; [unrolled: 1-line block ×3, first 2 shown]
	v_readfirstlane_b32 s16, v2
	v_readfirstlane_b32 s17, v11
	v_add_co_u32_e32 v9, vcc, v2, v30
	s_mov_b32 s13, s12
	s_mov_b32 s14, s12
	;; [unrolled: 1-line block ×3, first 2 shown]
	s_nop 0
	global_store_dwordx4 v30, v[3:6], s[16:17]
	v_mov_b32_e32 v2, s12
	v_addc_co_u32_e32 v10, vcc, 0, v11, vcc
	v_mov_b32_e32 v3, s13
	v_mov_b32_e32 v4, s14
	;; [unrolled: 1-line block ×3, first 2 shown]
	global_store_dwordx4 v30, v[2:5], s[16:17] offset:16
	global_store_dwordx4 v30, v[2:5], s[16:17] offset:32
	;; [unrolled: 1-line block ×3, first 2 shown]
	s_and_saveexec_b64 s[12:13], s[4:5]
	s_cbranch_execz .LBB1_128
; %bb.121:
	v_mov_b32_e32 v6, 0
	global_load_dwordx2 v[13:14], v6, s[6:7] offset:32 glc
	global_load_dwordx2 v[2:3], v6, s[6:7] offset:40
	v_mov_b32_e32 v11, s10
	v_mov_b32_e32 v12, s11
	s_waitcnt vmcnt(0)
	v_and_b32_e32 v2, s10, v2
	v_and_b32_e32 v3, s11, v3
	v_mul_lo_u32 v3, v3, 24
	v_mul_hi_u32 v4, v2, 24
	v_mul_lo_u32 v2, v2, 24
	v_add_u32_e32 v3, v4, v3
	v_add_co_u32_e32 v4, vcc, v0, v2
	v_addc_co_u32_e32 v5, vcc, v1, v3, vcc
	global_store_dwordx2 v[4:5], v[13:14], off
	s_waitcnt vmcnt(0)
	global_atomic_cmpswap_x2 v[2:3], v6, v[11:14], s[6:7] offset:32 glc
	s_waitcnt vmcnt(0)
	v_cmp_ne_u64_e32 vcc, v[2:3], v[13:14]
	s_and_saveexec_b64 s[14:15], vcc
	s_cbranch_execz .LBB1_124
; %bb.122:
	s_mov_b64 s[16:17], 0
.LBB1_123:                              ; =>This Inner Loop Header: Depth=1
	s_sleep 1
	global_store_dwordx2 v[4:5], v[2:3], off
	v_mov_b32_e32 v0, s10
	v_mov_b32_e32 v1, s11
	s_waitcnt vmcnt(0)
	global_atomic_cmpswap_x2 v[0:1], v6, v[0:3], s[6:7] offset:32 glc
	s_waitcnt vmcnt(0)
	v_cmp_eq_u64_e32 vcc, v[0:1], v[2:3]
	v_mov_b32_e32 v3, v1
	s_or_b64 s[16:17], vcc, s[16:17]
	v_mov_b32_e32 v2, v0
	s_andn2_b64 exec, exec, s[16:17]
	s_cbranch_execnz .LBB1_123
.LBB1_124:
	s_or_b64 exec, exec, s[14:15]
	v_mov_b32_e32 v3, 0
	global_load_dwordx2 v[0:1], v3, s[6:7] offset:16
	s_mov_b64 s[14:15], exec
	v_mbcnt_lo_u32_b32 v2, s14, 0
	v_mbcnt_hi_u32_b32 v2, s15, v2
	v_cmp_eq_u32_e32 vcc, 0, v2
	s_and_saveexec_b64 s[16:17], vcc
	s_cbranch_execz .LBB1_126
; %bb.125:
	s_bcnt1_i32_b64 s14, s[14:15]
	v_mov_b32_e32 v2, s14
	s_waitcnt vmcnt(0)
	global_atomic_add_x2 v[0:1], v[2:3], off offset:8
.LBB1_126:
	s_or_b64 exec, exec, s[16:17]
	s_waitcnt vmcnt(0)
	global_load_dwordx2 v[2:3], v[0:1], off offset:16
	s_waitcnt vmcnt(0)
	v_cmp_eq_u64_e32 vcc, 0, v[2:3]
	s_cbranch_vccnz .LBB1_128
; %bb.127:
	global_load_dword v0, v[0:1], off offset:24
	v_mov_b32_e32 v1, 0
	s_waitcnt vmcnt(0)
	global_store_dwordx2 v[2:3], v[0:1], off
	v_and_b32_e32 v0, 0xffffff, v0
	v_readfirstlane_b32 m0, v0
	s_sendmsg sendmsg(MSG_INTERRUPT)
.LBB1_128:
	s_or_b64 exec, exec, s[12:13]
	s_branch .LBB1_132
.LBB1_129:                              ;   in Loop: Header=BB1_132 Depth=1
	s_or_b64 exec, exec, s[12:13]
	v_readfirstlane_b32 s12, v0
	s_cmp_eq_u32 s12, 0
	s_cbranch_scc1 .LBB1_131
; %bb.130:                              ;   in Loop: Header=BB1_132 Depth=1
	s_sleep 1
	s_cbranch_execnz .LBB1_132
	s_branch .LBB1_134
.LBB1_131:
	s_branch .LBB1_134
.LBB1_132:                              ; =>This Inner Loop Header: Depth=1
	v_mov_b32_e32 v0, 1
	s_and_saveexec_b64 s[12:13], s[4:5]
	s_cbranch_execz .LBB1_129
; %bb.133:                              ;   in Loop: Header=BB1_132 Depth=1
	global_load_dword v0, v[7:8], off offset:20 glc
	s_waitcnt vmcnt(0)
	buffer_wbinvl1_vol
	v_and_b32_e32 v0, 1, v0
	s_branch .LBB1_129
.LBB1_134:
	global_load_dwordx2 v[0:1], v[9:10], off
	s_and_saveexec_b64 s[12:13], s[4:5]
	s_cbranch_execz .LBB1_137
; %bb.135:
	v_mov_b32_e32 v8, 0
	global_load_dwordx2 v[4:5], v8, s[6:7] offset:40
	global_load_dwordx2 v[9:10], v8, s[6:7] offset:24 glc
	global_load_dwordx2 v[6:7], v8, s[6:7]
	v_mov_b32_e32 v3, s11
	s_mov_b64 s[4:5], 0
	s_waitcnt vmcnt(2)
	v_add_co_u32_e32 v11, vcc, 1, v4
	v_addc_co_u32_e32 v12, vcc, 0, v5, vcc
	v_add_co_u32_e32 v2, vcc, s10, v11
	v_addc_co_u32_e32 v3, vcc, v12, v3, vcc
	v_cmp_eq_u64_e32 vcc, 0, v[2:3]
	v_cndmask_b32_e32 v3, v3, v12, vcc
	v_cndmask_b32_e32 v2, v2, v11, vcc
	v_and_b32_e32 v5, v3, v5
	v_and_b32_e32 v4, v2, v4
	v_mul_lo_u32 v5, v5, 24
	v_mul_hi_u32 v11, v4, 24
	v_mul_lo_u32 v12, v4, 24
	s_waitcnt vmcnt(1)
	v_mov_b32_e32 v4, v9
	v_add_u32_e32 v5, v11, v5
	s_waitcnt vmcnt(0)
	v_add_co_u32_e32 v6, vcc, v6, v12
	v_addc_co_u32_e32 v7, vcc, v7, v5, vcc
	global_store_dwordx2 v[6:7], v[9:10], off
	v_mov_b32_e32 v5, v10
	s_waitcnt vmcnt(0)
	global_atomic_cmpswap_x2 v[4:5], v8, v[2:5], s[6:7] offset:24 glc
	s_waitcnt vmcnt(0)
	v_cmp_ne_u64_e32 vcc, v[4:5], v[9:10]
	s_and_b64 exec, exec, vcc
	s_cbranch_execz .LBB1_137
.LBB1_136:                              ; =>This Inner Loop Header: Depth=1
	s_sleep 1
	global_store_dwordx2 v[6:7], v[4:5], off
	s_waitcnt vmcnt(0)
	global_atomic_cmpswap_x2 v[9:10], v8, v[2:5], s[6:7] offset:24 glc
	s_waitcnt vmcnt(0)
	v_cmp_eq_u64_e32 vcc, v[9:10], v[4:5]
	v_mov_b32_e32 v4, v9
	s_or_b64 s[4:5], vcc, s[4:5]
	v_mov_b32_e32 v5, v10
	s_andn2_b64 exec, exec, s[4:5]
	s_cbranch_execnz .LBB1_136
.LBB1_137:
	s_or_b64 exec, exec, s[12:13]
	s_getpc_b64 s[10:11]
	s_add_u32 s10, s10, .str.12@rel32@lo+4
	s_addc_u32 s11, s11, .str.12@rel32@hi+12
	s_cmp_lg_u64 s[10:11], 0
	s_cbranch_scc0 .LBB1_250
; %bb.138:
	s_waitcnt vmcnt(0)
	v_and_b32_e32 v6, -3, v0
	v_mov_b32_e32 v7, v1
	s_mov_b64 s[12:13], 6
	v_mov_b32_e32 v26, 0
	v_mov_b32_e32 v4, 2
	;; [unrolled: 1-line block ×3, first 2 shown]
	s_branch .LBB1_140
.LBB1_139:                              ;   in Loop: Header=BB1_140 Depth=1
	s_or_b64 exec, exec, s[18:19]
	s_sub_u32 s12, s12, s14
	s_subb_u32 s13, s13, s15
	s_add_u32 s10, s10, s14
	s_addc_u32 s11, s11, s15
	s_cmp_eq_u64 s[12:13], 0
	s_cbranch_scc1 .LBB1_221
.LBB1_140:                              ; =>This Loop Header: Depth=1
                                        ;     Child Loop BB1_143 Depth 2
                                        ;     Child Loop BB1_150 Depth 2
                                        ;     Child Loop BB1_158 Depth 2
                                        ;     Child Loop BB1_166 Depth 2
                                        ;     Child Loop BB1_174 Depth 2
                                        ;     Child Loop BB1_182 Depth 2
                                        ;     Child Loop BB1_190 Depth 2
                                        ;     Child Loop BB1_198 Depth 2
                                        ;     Child Loop BB1_206 Depth 2
                                        ;     Child Loop BB1_215 Depth 2
                                        ;     Child Loop BB1_220 Depth 2
	v_cmp_lt_u64_e64 s[4:5], s[12:13], 56
	v_cmp_gt_u64_e64 s[16:17], s[12:13], 7
	s_and_b64 s[4:5], s[4:5], exec
	s_cselect_b32 s15, s13, 0
	s_cselect_b32 s14, s12, 56
	s_and_b64 vcc, exec, s[16:17]
	s_cbranch_vccnz .LBB1_145
; %bb.141:                              ;   in Loop: Header=BB1_140 Depth=1
	s_waitcnt vmcnt(0)
	v_mov_b32_e32 v8, 0
	s_cmp_eq_u64 s[12:13], 0
	v_mov_b32_e32 v9, 0
	s_mov_b64 s[4:5], 0
	s_cbranch_scc1 .LBB1_144
; %bb.142:                              ;   in Loop: Header=BB1_140 Depth=1
	v_mov_b32_e32 v8, 0
	s_lshl_b64 s[16:17], s[14:15], 3
	s_mov_b64 s[18:19], 0
	v_mov_b32_e32 v9, 0
	s_mov_b64 s[20:21], s[10:11]
.LBB1_143:                              ;   Parent Loop BB1_140 Depth=1
                                        ; =>  This Inner Loop Header: Depth=2
	global_load_ubyte v2, v26, s[20:21]
	s_waitcnt vmcnt(0)
	v_and_b32_e32 v25, 0xffff, v2
	v_lshlrev_b64 v[2:3], s18, v[25:26]
	s_add_u32 s18, s18, 8
	s_addc_u32 s19, s19, 0
	s_add_u32 s20, s20, 1
	s_addc_u32 s21, s21, 0
	v_or_b32_e32 v8, v2, v8
	s_cmp_lg_u32 s16, s18
	v_or_b32_e32 v9, v3, v9
	s_cbranch_scc1 .LBB1_143
.LBB1_144:                              ;   in Loop: Header=BB1_140 Depth=1
	s_mov_b32 s20, 0
	s_andn2_b64 vcc, exec, s[4:5]
	s_mov_b64 s[4:5], s[10:11]
	s_cbranch_vccz .LBB1_146
	s_branch .LBB1_147
.LBB1_145:                              ;   in Loop: Header=BB1_140 Depth=1
                                        ; implicit-def: $sgpr20
	s_mov_b64 s[4:5], s[10:11]
.LBB1_146:                              ;   in Loop: Header=BB1_140 Depth=1
	global_load_dwordx2 v[8:9], v26, s[10:11]
	s_add_i32 s20, s14, -8
	s_add_u32 s4, s10, 8
	s_addc_u32 s5, s11, 0
.LBB1_147:                              ;   in Loop: Header=BB1_140 Depth=1
	s_cmp_gt_u32 s20, 7
	s_cbranch_scc1 .LBB1_151
; %bb.148:                              ;   in Loop: Header=BB1_140 Depth=1
	s_cmp_eq_u32 s20, 0
	s_cbranch_scc1 .LBB1_152
; %bb.149:                              ;   in Loop: Header=BB1_140 Depth=1
	v_mov_b32_e32 v10, 0
	s_mov_b64 s[16:17], 0
	v_mov_b32_e32 v11, 0
	s_mov_b64 s[18:19], 0
.LBB1_150:                              ;   Parent Loop BB1_140 Depth=1
                                        ; =>  This Inner Loop Header: Depth=2
	s_add_u32 s22, s4, s18
	s_addc_u32 s23, s5, s19
	global_load_ubyte v2, v26, s[22:23]
	s_add_u32 s18, s18, 1
	s_addc_u32 s19, s19, 0
	s_waitcnt vmcnt(0)
	v_and_b32_e32 v25, 0xffff, v2
	v_lshlrev_b64 v[2:3], s16, v[25:26]
	s_add_u32 s16, s16, 8
	s_addc_u32 s17, s17, 0
	v_or_b32_e32 v10, v2, v10
	s_cmp_lg_u32 s20, s18
	v_or_b32_e32 v11, v3, v11
	s_cbranch_scc1 .LBB1_150
	s_branch .LBB1_153
.LBB1_151:                              ;   in Loop: Header=BB1_140 Depth=1
                                        ; implicit-def: $vgpr10_vgpr11
                                        ; implicit-def: $sgpr21
	s_branch .LBB1_154
.LBB1_152:                              ;   in Loop: Header=BB1_140 Depth=1
	v_mov_b32_e32 v10, 0
	v_mov_b32_e32 v11, 0
.LBB1_153:                              ;   in Loop: Header=BB1_140 Depth=1
	s_mov_b32 s21, 0
	s_cbranch_execnz .LBB1_155
.LBB1_154:                              ;   in Loop: Header=BB1_140 Depth=1
	global_load_dwordx2 v[10:11], v26, s[4:5]
	s_add_i32 s21, s20, -8
	s_add_u32 s4, s4, 8
	s_addc_u32 s5, s5, 0
.LBB1_155:                              ;   in Loop: Header=BB1_140 Depth=1
	s_cmp_gt_u32 s21, 7
	s_cbranch_scc1 .LBB1_159
; %bb.156:                              ;   in Loop: Header=BB1_140 Depth=1
	s_cmp_eq_u32 s21, 0
	s_cbranch_scc1 .LBB1_160
; %bb.157:                              ;   in Loop: Header=BB1_140 Depth=1
	v_mov_b32_e32 v12, 0
	s_mov_b64 s[16:17], 0
	v_mov_b32_e32 v13, 0
	s_mov_b64 s[18:19], 0
.LBB1_158:                              ;   Parent Loop BB1_140 Depth=1
                                        ; =>  This Inner Loop Header: Depth=2
	s_add_u32 s22, s4, s18
	s_addc_u32 s23, s5, s19
	global_load_ubyte v2, v26, s[22:23]
	s_add_u32 s18, s18, 1
	s_addc_u32 s19, s19, 0
	s_waitcnt vmcnt(0)
	v_and_b32_e32 v25, 0xffff, v2
	v_lshlrev_b64 v[2:3], s16, v[25:26]
	s_add_u32 s16, s16, 8
	s_addc_u32 s17, s17, 0
	v_or_b32_e32 v12, v2, v12
	s_cmp_lg_u32 s21, s18
	v_or_b32_e32 v13, v3, v13
	s_cbranch_scc1 .LBB1_158
	s_branch .LBB1_161
.LBB1_159:                              ;   in Loop: Header=BB1_140 Depth=1
                                        ; implicit-def: $sgpr20
	s_branch .LBB1_162
.LBB1_160:                              ;   in Loop: Header=BB1_140 Depth=1
	v_mov_b32_e32 v12, 0
	v_mov_b32_e32 v13, 0
.LBB1_161:                              ;   in Loop: Header=BB1_140 Depth=1
	s_mov_b32 s20, 0
	s_cbranch_execnz .LBB1_163
.LBB1_162:                              ;   in Loop: Header=BB1_140 Depth=1
	global_load_dwordx2 v[12:13], v26, s[4:5]
	s_add_i32 s20, s21, -8
	s_add_u32 s4, s4, 8
	s_addc_u32 s5, s5, 0
.LBB1_163:                              ;   in Loop: Header=BB1_140 Depth=1
	s_cmp_gt_u32 s20, 7
	s_cbranch_scc1 .LBB1_167
; %bb.164:                              ;   in Loop: Header=BB1_140 Depth=1
	s_cmp_eq_u32 s20, 0
	s_cbranch_scc1 .LBB1_168
; %bb.165:                              ;   in Loop: Header=BB1_140 Depth=1
	v_mov_b32_e32 v14, 0
	s_mov_b64 s[16:17], 0
	v_mov_b32_e32 v15, 0
	s_mov_b64 s[18:19], 0
.LBB1_166:                              ;   Parent Loop BB1_140 Depth=1
                                        ; =>  This Inner Loop Header: Depth=2
	s_add_u32 s22, s4, s18
	s_addc_u32 s23, s5, s19
	global_load_ubyte v2, v26, s[22:23]
	s_add_u32 s18, s18, 1
	s_addc_u32 s19, s19, 0
	s_waitcnt vmcnt(0)
	v_and_b32_e32 v25, 0xffff, v2
	v_lshlrev_b64 v[2:3], s16, v[25:26]
	s_add_u32 s16, s16, 8
	s_addc_u32 s17, s17, 0
	v_or_b32_e32 v14, v2, v14
	s_cmp_lg_u32 s20, s18
	v_or_b32_e32 v15, v3, v15
	s_cbranch_scc1 .LBB1_166
	s_branch .LBB1_169
.LBB1_167:                              ;   in Loop: Header=BB1_140 Depth=1
                                        ; implicit-def: $vgpr14_vgpr15
                                        ; implicit-def: $sgpr21
	s_branch .LBB1_170
.LBB1_168:                              ;   in Loop: Header=BB1_140 Depth=1
	v_mov_b32_e32 v14, 0
	v_mov_b32_e32 v15, 0
.LBB1_169:                              ;   in Loop: Header=BB1_140 Depth=1
	s_mov_b32 s21, 0
	s_cbranch_execnz .LBB1_171
.LBB1_170:                              ;   in Loop: Header=BB1_140 Depth=1
	global_load_dwordx2 v[14:15], v26, s[4:5]
	s_add_i32 s21, s20, -8
	s_add_u32 s4, s4, 8
	s_addc_u32 s5, s5, 0
.LBB1_171:                              ;   in Loop: Header=BB1_140 Depth=1
	s_cmp_gt_u32 s21, 7
	s_cbranch_scc1 .LBB1_175
; %bb.172:                              ;   in Loop: Header=BB1_140 Depth=1
	s_cmp_eq_u32 s21, 0
	s_cbranch_scc1 .LBB1_176
; %bb.173:                              ;   in Loop: Header=BB1_140 Depth=1
	v_mov_b32_e32 v16, 0
	s_mov_b64 s[16:17], 0
	v_mov_b32_e32 v17, 0
	s_mov_b64 s[18:19], 0
.LBB1_174:                              ;   Parent Loop BB1_140 Depth=1
                                        ; =>  This Inner Loop Header: Depth=2
	s_add_u32 s22, s4, s18
	s_addc_u32 s23, s5, s19
	global_load_ubyte v2, v26, s[22:23]
	s_add_u32 s18, s18, 1
	s_addc_u32 s19, s19, 0
	s_waitcnt vmcnt(0)
	v_and_b32_e32 v25, 0xffff, v2
	v_lshlrev_b64 v[2:3], s16, v[25:26]
	s_add_u32 s16, s16, 8
	s_addc_u32 s17, s17, 0
	v_or_b32_e32 v16, v2, v16
	s_cmp_lg_u32 s21, s18
	v_or_b32_e32 v17, v3, v17
	s_cbranch_scc1 .LBB1_174
	s_branch .LBB1_177
.LBB1_175:                              ;   in Loop: Header=BB1_140 Depth=1
                                        ; implicit-def: $sgpr20
	s_branch .LBB1_178
.LBB1_176:                              ;   in Loop: Header=BB1_140 Depth=1
	v_mov_b32_e32 v16, 0
	v_mov_b32_e32 v17, 0
.LBB1_177:                              ;   in Loop: Header=BB1_140 Depth=1
	s_mov_b32 s20, 0
	s_cbranch_execnz .LBB1_179
.LBB1_178:                              ;   in Loop: Header=BB1_140 Depth=1
	global_load_dwordx2 v[16:17], v26, s[4:5]
	s_add_i32 s20, s21, -8
	s_add_u32 s4, s4, 8
	s_addc_u32 s5, s5, 0
.LBB1_179:                              ;   in Loop: Header=BB1_140 Depth=1
	s_cmp_gt_u32 s20, 7
	s_cbranch_scc1 .LBB1_183
; %bb.180:                              ;   in Loop: Header=BB1_140 Depth=1
	s_cmp_eq_u32 s20, 0
	s_cbranch_scc1 .LBB1_184
; %bb.181:                              ;   in Loop: Header=BB1_140 Depth=1
	v_mov_b32_e32 v18, 0
	s_mov_b64 s[16:17], 0
	v_mov_b32_e32 v19, 0
	s_mov_b64 s[18:19], 0
.LBB1_182:                              ;   Parent Loop BB1_140 Depth=1
                                        ; =>  This Inner Loop Header: Depth=2
	s_add_u32 s22, s4, s18
	s_addc_u32 s23, s5, s19
	global_load_ubyte v2, v26, s[22:23]
	s_add_u32 s18, s18, 1
	s_addc_u32 s19, s19, 0
	s_waitcnt vmcnt(0)
	v_and_b32_e32 v25, 0xffff, v2
	v_lshlrev_b64 v[2:3], s16, v[25:26]
	s_add_u32 s16, s16, 8
	s_addc_u32 s17, s17, 0
	v_or_b32_e32 v18, v2, v18
	s_cmp_lg_u32 s20, s18
	v_or_b32_e32 v19, v3, v19
	s_cbranch_scc1 .LBB1_182
	s_branch .LBB1_185
.LBB1_183:                              ;   in Loop: Header=BB1_140 Depth=1
                                        ; implicit-def: $vgpr18_vgpr19
                                        ; implicit-def: $sgpr21
	s_branch .LBB1_186
.LBB1_184:                              ;   in Loop: Header=BB1_140 Depth=1
	v_mov_b32_e32 v18, 0
	v_mov_b32_e32 v19, 0
.LBB1_185:                              ;   in Loop: Header=BB1_140 Depth=1
	s_mov_b32 s21, 0
	s_cbranch_execnz .LBB1_187
.LBB1_186:                              ;   in Loop: Header=BB1_140 Depth=1
	global_load_dwordx2 v[18:19], v26, s[4:5]
	s_add_i32 s21, s20, -8
	s_add_u32 s4, s4, 8
	s_addc_u32 s5, s5, 0
.LBB1_187:                              ;   in Loop: Header=BB1_140 Depth=1
	s_cmp_gt_u32 s21, 7
	s_cbranch_scc1 .LBB1_191
; %bb.188:                              ;   in Loop: Header=BB1_140 Depth=1
	s_cmp_eq_u32 s21, 0
	s_cbranch_scc1 .LBB1_192
; %bb.189:                              ;   in Loop: Header=BB1_140 Depth=1
	v_mov_b32_e32 v20, 0
	s_mov_b64 s[16:17], 0
	v_mov_b32_e32 v21, 0
	s_mov_b64 s[18:19], s[4:5]
.LBB1_190:                              ;   Parent Loop BB1_140 Depth=1
                                        ; =>  This Inner Loop Header: Depth=2
	global_load_ubyte v2, v26, s[18:19]
	s_add_i32 s21, s21, -1
	s_waitcnt vmcnt(0)
	v_and_b32_e32 v25, 0xffff, v2
	v_lshlrev_b64 v[2:3], s16, v[25:26]
	s_add_u32 s16, s16, 8
	s_addc_u32 s17, s17, 0
	s_add_u32 s18, s18, 1
	s_addc_u32 s19, s19, 0
	v_or_b32_e32 v20, v2, v20
	s_cmp_lg_u32 s21, 0
	v_or_b32_e32 v21, v3, v21
	s_cbranch_scc1 .LBB1_190
	s_branch .LBB1_193
.LBB1_191:                              ;   in Loop: Header=BB1_140 Depth=1
	s_branch .LBB1_194
.LBB1_192:                              ;   in Loop: Header=BB1_140 Depth=1
	v_mov_b32_e32 v20, 0
	v_mov_b32_e32 v21, 0
.LBB1_193:                              ;   in Loop: Header=BB1_140 Depth=1
	s_cbranch_execnz .LBB1_195
.LBB1_194:                              ;   in Loop: Header=BB1_140 Depth=1
	global_load_dwordx2 v[20:21], v26, s[4:5]
.LBB1_195:                              ;   in Loop: Header=BB1_140 Depth=1
	v_readfirstlane_b32 s4, v29
	v_mov_b32_e32 v2, 0
	v_mov_b32_e32 v3, 0
	v_cmp_eq_u32_e64 s[4:5], s4, v29
	s_and_saveexec_b64 s[16:17], s[4:5]
	s_cbranch_execz .LBB1_201
; %bb.196:                              ;   in Loop: Header=BB1_140 Depth=1
	global_load_dwordx2 v[24:25], v26, s[6:7] offset:24 glc
	s_waitcnt vmcnt(0)
	buffer_wbinvl1_vol
	global_load_dwordx2 v[2:3], v26, s[6:7] offset:40
	global_load_dwordx2 v[22:23], v26, s[6:7]
	s_waitcnt vmcnt(1)
	v_and_b32_e32 v2, v2, v24
	v_and_b32_e32 v3, v3, v25
	v_mul_lo_u32 v3, v3, 24
	v_mul_hi_u32 v27, v2, 24
	v_mul_lo_u32 v2, v2, 24
	v_add_u32_e32 v3, v27, v3
	s_waitcnt vmcnt(0)
	v_add_co_u32_e32 v2, vcc, v22, v2
	v_addc_co_u32_e32 v3, vcc, v23, v3, vcc
	global_load_dwordx2 v[22:23], v[2:3], off glc
	s_waitcnt vmcnt(0)
	global_atomic_cmpswap_x2 v[2:3], v26, v[22:25], s[6:7] offset:24 glc
	s_waitcnt vmcnt(0)
	buffer_wbinvl1_vol
	v_cmp_ne_u64_e32 vcc, v[2:3], v[24:25]
	s_and_saveexec_b64 s[18:19], vcc
	s_cbranch_execz .LBB1_200
; %bb.197:                              ;   in Loop: Header=BB1_140 Depth=1
	s_mov_b64 s[20:21], 0
.LBB1_198:                              ;   Parent Loop BB1_140 Depth=1
                                        ; =>  This Inner Loop Header: Depth=2
	s_sleep 1
	global_load_dwordx2 v[22:23], v26, s[6:7] offset:40
	global_load_dwordx2 v[27:28], v26, s[6:7]
	v_mov_b32_e32 v25, v3
	v_mov_b32_e32 v24, v2
	s_waitcnt vmcnt(1)
	v_and_b32_e32 v2, v22, v24
	s_waitcnt vmcnt(0)
	v_mad_u64_u32 v[2:3], s[22:23], v2, 24, v[27:28]
	v_and_b32_e32 v22, v23, v25
	v_mad_u64_u32 v[22:23], s[22:23], v22, 24, v[3:4]
	v_mov_b32_e32 v3, v22
	global_load_dwordx2 v[22:23], v[2:3], off glc
	s_waitcnt vmcnt(0)
	global_atomic_cmpswap_x2 v[2:3], v26, v[22:25], s[6:7] offset:24 glc
	s_waitcnt vmcnt(0)
	buffer_wbinvl1_vol
	v_cmp_eq_u64_e32 vcc, v[2:3], v[24:25]
	s_or_b64 s[20:21], vcc, s[20:21]
	s_andn2_b64 exec, exec, s[20:21]
	s_cbranch_execnz .LBB1_198
; %bb.199:                              ;   in Loop: Header=BB1_140 Depth=1
	s_or_b64 exec, exec, s[20:21]
.LBB1_200:                              ;   in Loop: Header=BB1_140 Depth=1
	s_or_b64 exec, exec, s[18:19]
.LBB1_201:                              ;   in Loop: Header=BB1_140 Depth=1
	s_or_b64 exec, exec, s[16:17]
	global_load_dwordx2 v[27:28], v26, s[6:7] offset:40
	global_load_dwordx4 v[22:25], v26, s[6:7]
	v_readfirstlane_b32 s16, v2
	v_readfirstlane_b32 s17, v3
	s_mov_b64 s[18:19], exec
	s_waitcnt vmcnt(1)
	v_readfirstlane_b32 s20, v27
	v_readfirstlane_b32 s21, v28
	s_and_b64 s[20:21], s[16:17], s[20:21]
	s_mul_i32 s22, s21, 24
	s_mul_hi_u32 s23, s20, 24
	s_mul_i32 s24, s20, 24
	s_add_i32 s22, s23, s22
	v_mov_b32_e32 v2, s22
	s_waitcnt vmcnt(0)
	v_add_co_u32_e32 v27, vcc, s24, v22
	v_addc_co_u32_e32 v28, vcc, v23, v2, vcc
	s_and_saveexec_b64 s[22:23], s[4:5]
	s_cbranch_execz .LBB1_203
; %bb.202:                              ;   in Loop: Header=BB1_140 Depth=1
	v_mov_b32_e32 v2, s18
	v_mov_b32_e32 v3, s19
	global_store_dwordx4 v[27:28], v[2:5], off offset:8
.LBB1_203:                              ;   in Loop: Header=BB1_140 Depth=1
	s_or_b64 exec, exec, s[22:23]
	s_lshl_b64 s[18:19], s[20:21], 12
	v_mov_b32_e32 v2, s19
	v_add_co_u32_e32 v24, vcc, s18, v24
	v_addc_co_u32_e32 v31, vcc, v25, v2, vcc
	v_cmp_gt_u64_e64 vcc, s[12:13], 56
	v_or_b32_e32 v2, 2, v6
	s_lshl_b32 s18, s14, 2
	v_cndmask_b32_e32 v2, v2, v6, vcc
	s_add_i32 s18, s18, 28
	s_and_b32 s18, s18, 0x1e0
	v_and_b32_e32 v2, 0xffffff1f, v2
	v_or_b32_e32 v6, s18, v2
	v_readfirstlane_b32 s18, v24
	v_readfirstlane_b32 s19, v31
	s_nop 4
	global_store_dwordx4 v30, v[6:9], s[18:19]
	global_store_dwordx4 v30, v[10:13], s[18:19] offset:16
	global_store_dwordx4 v30, v[14:17], s[18:19] offset:32
	;; [unrolled: 1-line block ×3, first 2 shown]
	s_and_saveexec_b64 s[18:19], s[4:5]
	s_cbranch_execz .LBB1_211
; %bb.204:                              ;   in Loop: Header=BB1_140 Depth=1
	global_load_dwordx2 v[10:11], v26, s[6:7] offset:32 glc
	global_load_dwordx2 v[2:3], v26, s[6:7] offset:40
	v_mov_b32_e32 v8, s16
	v_mov_b32_e32 v9, s17
	s_waitcnt vmcnt(0)
	v_readfirstlane_b32 s20, v2
	v_readfirstlane_b32 s21, v3
	s_and_b64 s[20:21], s[20:21], s[16:17]
	s_mul_i32 s21, s21, 24
	s_mul_hi_u32 s22, s20, 24
	s_mul_i32 s20, s20, 24
	s_add_i32 s21, s22, s21
	v_mov_b32_e32 v3, s21
	v_add_co_u32_e32 v2, vcc, s20, v22
	v_addc_co_u32_e32 v3, vcc, v23, v3, vcc
	global_store_dwordx2 v[2:3], v[10:11], off
	s_waitcnt vmcnt(0)
	global_atomic_cmpswap_x2 v[8:9], v26, v[8:11], s[6:7] offset:32 glc
	s_waitcnt vmcnt(0)
	v_cmp_ne_u64_e32 vcc, v[8:9], v[10:11]
	s_and_saveexec_b64 s[20:21], vcc
	s_cbranch_execz .LBB1_207
; %bb.205:                              ;   in Loop: Header=BB1_140 Depth=1
	s_mov_b64 s[22:23], 0
.LBB1_206:                              ;   Parent Loop BB1_140 Depth=1
                                        ; =>  This Inner Loop Header: Depth=2
	s_sleep 1
	global_store_dwordx2 v[2:3], v[8:9], off
	v_mov_b32_e32 v6, s16
	v_mov_b32_e32 v7, s17
	s_waitcnt vmcnt(0)
	global_atomic_cmpswap_x2 v[6:7], v26, v[6:9], s[6:7] offset:32 glc
	s_waitcnt vmcnt(0)
	v_cmp_eq_u64_e32 vcc, v[6:7], v[8:9]
	v_mov_b32_e32 v9, v7
	s_or_b64 s[22:23], vcc, s[22:23]
	v_mov_b32_e32 v8, v6
	s_andn2_b64 exec, exec, s[22:23]
	s_cbranch_execnz .LBB1_206
.LBB1_207:                              ;   in Loop: Header=BB1_140 Depth=1
	s_or_b64 exec, exec, s[20:21]
	global_load_dwordx2 v[2:3], v26, s[6:7] offset:16
	s_mov_b64 s[22:23], exec
	v_mbcnt_lo_u32_b32 v6, s22, 0
	v_mbcnt_hi_u32_b32 v6, s23, v6
	v_cmp_eq_u32_e32 vcc, 0, v6
	s_and_saveexec_b64 s[20:21], vcc
	s_cbranch_execz .LBB1_209
; %bb.208:                              ;   in Loop: Header=BB1_140 Depth=1
	s_bcnt1_i32_b64 s22, s[22:23]
	v_mov_b32_e32 v25, s22
	s_waitcnt vmcnt(0)
	global_atomic_add_x2 v[2:3], v[25:26], off offset:8
.LBB1_209:                              ;   in Loop: Header=BB1_140 Depth=1
	s_or_b64 exec, exec, s[20:21]
	s_waitcnt vmcnt(0)
	global_load_dwordx2 v[6:7], v[2:3], off offset:16
	s_waitcnt vmcnt(0)
	v_cmp_eq_u64_e32 vcc, 0, v[6:7]
	s_cbranch_vccnz .LBB1_211
; %bb.210:                              ;   in Loop: Header=BB1_140 Depth=1
	global_load_dword v25, v[2:3], off offset:24
	s_waitcnt vmcnt(0)
	v_and_b32_e32 v2, 0xffffff, v25
	v_readfirstlane_b32 m0, v2
	global_store_dwordx2 v[6:7], v[25:26], off
	s_sendmsg sendmsg(MSG_INTERRUPT)
.LBB1_211:                              ;   in Loop: Header=BB1_140 Depth=1
	s_or_b64 exec, exec, s[18:19]
	v_add_co_u32_e32 v2, vcc, v24, v30
	v_addc_co_u32_e32 v3, vcc, 0, v31, vcc
	s_branch .LBB1_215
.LBB1_212:                              ;   in Loop: Header=BB1_215 Depth=2
	s_or_b64 exec, exec, s[18:19]
	v_readfirstlane_b32 s18, v6
	s_cmp_eq_u32 s18, 0
	s_cbranch_scc1 .LBB1_214
; %bb.213:                              ;   in Loop: Header=BB1_215 Depth=2
	s_sleep 1
	s_cbranch_execnz .LBB1_215
	s_branch .LBB1_217
.LBB1_214:                              ;   in Loop: Header=BB1_140 Depth=1
	s_branch .LBB1_217
.LBB1_215:                              ;   Parent Loop BB1_140 Depth=1
                                        ; =>  This Inner Loop Header: Depth=2
	v_mov_b32_e32 v6, 1
	s_and_saveexec_b64 s[18:19], s[4:5]
	s_cbranch_execz .LBB1_212
; %bb.216:                              ;   in Loop: Header=BB1_215 Depth=2
	global_load_dword v6, v[27:28], off offset:20 glc
	s_waitcnt vmcnt(0)
	buffer_wbinvl1_vol
	v_and_b32_e32 v6, 1, v6
	s_branch .LBB1_212
.LBB1_217:                              ;   in Loop: Header=BB1_140 Depth=1
	global_load_dwordx4 v[6:9], v[2:3], off
	s_and_saveexec_b64 s[18:19], s[4:5]
	s_cbranch_execz .LBB1_139
; %bb.218:                              ;   in Loop: Header=BB1_140 Depth=1
	global_load_dwordx2 v[2:3], v26, s[6:7] offset:40
	global_load_dwordx2 v[12:13], v26, s[6:7] offset:24 glc
	global_load_dwordx2 v[14:15], v26, s[6:7]
	s_waitcnt vmcnt(3)
	v_mov_b32_e32 v9, s17
	s_waitcnt vmcnt(2)
	v_add_co_u32_e32 v10, vcc, 1, v2
	v_addc_co_u32_e32 v11, vcc, 0, v3, vcc
	v_add_co_u32_e32 v8, vcc, s16, v10
	v_addc_co_u32_e32 v9, vcc, v11, v9, vcc
	v_cmp_eq_u64_e32 vcc, 0, v[8:9]
	v_cndmask_b32_e32 v9, v9, v11, vcc
	v_cndmask_b32_e32 v8, v8, v10, vcc
	v_and_b32_e32 v3, v9, v3
	v_and_b32_e32 v2, v8, v2
	v_mul_lo_u32 v3, v3, 24
	v_mul_hi_u32 v11, v2, 24
	v_mul_lo_u32 v2, v2, 24
	s_waitcnt vmcnt(1)
	v_mov_b32_e32 v10, v12
	v_add_u32_e32 v3, v11, v3
	s_waitcnt vmcnt(0)
	v_add_co_u32_e32 v2, vcc, v14, v2
	v_addc_co_u32_e32 v3, vcc, v15, v3, vcc
	global_store_dwordx2 v[2:3], v[12:13], off
	v_mov_b32_e32 v11, v13
	s_waitcnt vmcnt(0)
	global_atomic_cmpswap_x2 v[10:11], v26, v[8:11], s[6:7] offset:24 glc
	s_waitcnt vmcnt(0)
	v_cmp_ne_u64_e32 vcc, v[10:11], v[12:13]
	s_and_b64 exec, exec, vcc
	s_cbranch_execz .LBB1_139
; %bb.219:                              ;   in Loop: Header=BB1_140 Depth=1
	s_mov_b64 s[4:5], 0
.LBB1_220:                              ;   Parent Loop BB1_140 Depth=1
                                        ; =>  This Inner Loop Header: Depth=2
	s_sleep 1
	global_store_dwordx2 v[2:3], v[10:11], off
	s_waitcnt vmcnt(0)
	global_atomic_cmpswap_x2 v[12:13], v26, v[8:11], s[6:7] offset:24 glc
	s_waitcnt vmcnt(0)
	v_cmp_eq_u64_e32 vcc, v[12:13], v[10:11]
	v_mov_b32_e32 v10, v12
	s_or_b64 s[4:5], vcc, s[4:5]
	v_mov_b32_e32 v11, v13
	s_andn2_b64 exec, exec, s[4:5]
	s_cbranch_execnz .LBB1_220
	s_branch .LBB1_139
.LBB1_221:
.LBB1_222:
	s_or_b64 exec, exec, s[8:9]
	s_waitcnt vmcnt(0) lgkmcnt(0)
	s_setpc_b64 s[30:31]
.LBB1_223:
	s_cbranch_execz .LBB1_111
; %bb.224:
	v_readfirstlane_b32 s4, v29
	s_waitcnt vmcnt(0)
	v_mov_b32_e32 v8, 0
	v_mov_b32_e32 v9, 0
	v_cmp_eq_u32_e64 s[4:5], s4, v29
	s_and_saveexec_b64 s[10:11], s[4:5]
	s_cbranch_execz .LBB1_230
; %bb.225:
	v_mov_b32_e32 v2, 0
	global_load_dwordx2 v[5:6], v2, s[6:7] offset:24 glc
	s_waitcnt vmcnt(0)
	buffer_wbinvl1_vol
	global_load_dwordx2 v[3:4], v2, s[6:7] offset:40
	global_load_dwordx2 v[7:8], v2, s[6:7]
	s_waitcnt vmcnt(1)
	v_and_b32_e32 v3, v3, v5
	v_and_b32_e32 v4, v4, v6
	v_mul_lo_u32 v4, v4, 24
	v_mul_hi_u32 v9, v3, 24
	v_mul_lo_u32 v3, v3, 24
	v_add_u32_e32 v4, v9, v4
	s_waitcnt vmcnt(0)
	v_add_co_u32_e32 v3, vcc, v7, v3
	v_addc_co_u32_e32 v4, vcc, v8, v4, vcc
	global_load_dwordx2 v[3:4], v[3:4], off glc
	s_waitcnt vmcnt(0)
	global_atomic_cmpswap_x2 v[8:9], v2, v[3:6], s[6:7] offset:24 glc
	s_waitcnt vmcnt(0)
	buffer_wbinvl1_vol
	v_cmp_ne_u64_e32 vcc, v[8:9], v[5:6]
	s_and_saveexec_b64 s[12:13], vcc
	s_cbranch_execz .LBB1_229
; %bb.226:
	s_mov_b64 s[14:15], 0
.LBB1_227:                              ; =>This Inner Loop Header: Depth=1
	s_sleep 1
	global_load_dwordx2 v[3:4], v2, s[6:7] offset:40
	global_load_dwordx2 v[10:11], v2, s[6:7]
	v_mov_b32_e32 v5, v8
	v_mov_b32_e32 v6, v9
	s_waitcnt vmcnt(1)
	v_and_b32_e32 v3, v3, v5
	s_waitcnt vmcnt(0)
	v_mad_u64_u32 v[7:8], s[16:17], v3, 24, v[10:11]
	v_and_b32_e32 v4, v4, v6
	v_mov_b32_e32 v3, v8
	v_mad_u64_u32 v[3:4], s[16:17], v4, 24, v[3:4]
	v_mov_b32_e32 v8, v3
	global_load_dwordx2 v[3:4], v[7:8], off glc
	s_waitcnt vmcnt(0)
	global_atomic_cmpswap_x2 v[8:9], v2, v[3:6], s[6:7] offset:24 glc
	s_waitcnt vmcnt(0)
	buffer_wbinvl1_vol
	v_cmp_eq_u64_e32 vcc, v[8:9], v[5:6]
	s_or_b64 s[14:15], vcc, s[14:15]
	s_andn2_b64 exec, exec, s[14:15]
	s_cbranch_execnz .LBB1_227
; %bb.228:
	s_or_b64 exec, exec, s[14:15]
.LBB1_229:
	s_or_b64 exec, exec, s[12:13]
.LBB1_230:
	s_or_b64 exec, exec, s[10:11]
	v_mov_b32_e32 v2, 0
	global_load_dwordx2 v[10:11], v2, s[6:7] offset:40
	global_load_dwordx4 v[4:7], v2, s[6:7]
	v_readfirstlane_b32 s10, v8
	v_readfirstlane_b32 s11, v9
	s_mov_b64 s[12:13], exec
	s_waitcnt vmcnt(1)
	v_readfirstlane_b32 s14, v10
	v_readfirstlane_b32 s15, v11
	s_and_b64 s[14:15], s[10:11], s[14:15]
	s_mul_i32 s16, s15, 24
	s_mul_hi_u32 s17, s14, 24
	s_mul_i32 s18, s14, 24
	s_add_i32 s16, s17, s16
	v_mov_b32_e32 v3, s16
	s_waitcnt vmcnt(0)
	v_add_co_u32_e32 v8, vcc, s18, v4
	v_addc_co_u32_e32 v9, vcc, v5, v3, vcc
	s_and_saveexec_b64 s[16:17], s[4:5]
	s_cbranch_execz .LBB1_232
; %bb.231:
	v_mov_b32_e32 v10, s12
	v_mov_b32_e32 v11, s13
	;; [unrolled: 1-line block ×4, first 2 shown]
	global_store_dwordx4 v[8:9], v[10:13], off offset:8
.LBB1_232:
	s_or_b64 exec, exec, s[16:17]
	s_lshl_b64 s[12:13], s[14:15], 12
	v_mov_b32_e32 v3, s13
	v_add_co_u32_e32 v6, vcc, s12, v6
	v_addc_co_u32_e32 v7, vcc, v7, v3, vcc
	s_movk_i32 s12, 0xff1d
	v_and_or_b32 v0, v0, s12, 34
	s_mov_b32 s12, 0
	v_mov_b32_e32 v3, v2
	v_readfirstlane_b32 s16, v6
	v_readfirstlane_b32 s17, v7
	s_mov_b32 s13, s12
	s_mov_b32 s14, s12
	;; [unrolled: 1-line block ×3, first 2 shown]
	s_nop 1
	global_store_dwordx4 v30, v[0:3], s[16:17]
	s_nop 0
	v_mov_b32_e32 v0, s12
	v_mov_b32_e32 v1, s13
	;; [unrolled: 1-line block ×4, first 2 shown]
	global_store_dwordx4 v30, v[0:3], s[16:17] offset:16
	global_store_dwordx4 v30, v[0:3], s[16:17] offset:32
	;; [unrolled: 1-line block ×3, first 2 shown]
	s_and_saveexec_b64 s[12:13], s[4:5]
	s_cbranch_execz .LBB1_240
; %bb.233:
	v_mov_b32_e32 v6, 0
	global_load_dwordx2 v[12:13], v6, s[6:7] offset:32 glc
	global_load_dwordx2 v[0:1], v6, s[6:7] offset:40
	v_mov_b32_e32 v10, s10
	v_mov_b32_e32 v11, s11
	s_waitcnt vmcnt(0)
	v_readfirstlane_b32 s14, v0
	v_readfirstlane_b32 s15, v1
	s_and_b64 s[14:15], s[14:15], s[10:11]
	s_mul_i32 s15, s15, 24
	s_mul_hi_u32 s16, s14, 24
	s_mul_i32 s14, s14, 24
	s_add_i32 s15, s16, s15
	v_mov_b32_e32 v0, s15
	v_add_co_u32_e32 v4, vcc, s14, v4
	v_addc_co_u32_e32 v5, vcc, v5, v0, vcc
	global_store_dwordx2 v[4:5], v[12:13], off
	s_waitcnt vmcnt(0)
	global_atomic_cmpswap_x2 v[2:3], v6, v[10:13], s[6:7] offset:32 glc
	s_waitcnt vmcnt(0)
	v_cmp_ne_u64_e32 vcc, v[2:3], v[12:13]
	s_and_saveexec_b64 s[14:15], vcc
	s_cbranch_execz .LBB1_236
; %bb.234:
	s_mov_b64 s[16:17], 0
.LBB1_235:                              ; =>This Inner Loop Header: Depth=1
	s_sleep 1
	global_store_dwordx2 v[4:5], v[2:3], off
	v_mov_b32_e32 v0, s10
	v_mov_b32_e32 v1, s11
	s_waitcnt vmcnt(0)
	global_atomic_cmpswap_x2 v[0:1], v6, v[0:3], s[6:7] offset:32 glc
	s_waitcnt vmcnt(0)
	v_cmp_eq_u64_e32 vcc, v[0:1], v[2:3]
	v_mov_b32_e32 v3, v1
	s_or_b64 s[16:17], vcc, s[16:17]
	v_mov_b32_e32 v2, v0
	s_andn2_b64 exec, exec, s[16:17]
	s_cbranch_execnz .LBB1_235
.LBB1_236:
	s_or_b64 exec, exec, s[14:15]
	v_mov_b32_e32 v3, 0
	global_load_dwordx2 v[0:1], v3, s[6:7] offset:16
	s_mov_b64 s[14:15], exec
	v_mbcnt_lo_u32_b32 v2, s14, 0
	v_mbcnt_hi_u32_b32 v2, s15, v2
	v_cmp_eq_u32_e32 vcc, 0, v2
	s_and_saveexec_b64 s[16:17], vcc
	s_cbranch_execz .LBB1_238
; %bb.237:
	s_bcnt1_i32_b64 s14, s[14:15]
	v_mov_b32_e32 v2, s14
	s_waitcnt vmcnt(0)
	global_atomic_add_x2 v[0:1], v[2:3], off offset:8
.LBB1_238:
	s_or_b64 exec, exec, s[16:17]
	s_waitcnt vmcnt(0)
	global_load_dwordx2 v[2:3], v[0:1], off offset:16
	s_waitcnt vmcnt(0)
	v_cmp_eq_u64_e32 vcc, 0, v[2:3]
	s_cbranch_vccnz .LBB1_240
; %bb.239:
	global_load_dword v0, v[0:1], off offset:24
	v_mov_b32_e32 v1, 0
	s_waitcnt vmcnt(0)
	global_store_dwordx2 v[2:3], v[0:1], off
	v_and_b32_e32 v0, 0xffffff, v0
	v_readfirstlane_b32 m0, v0
	s_sendmsg sendmsg(MSG_INTERRUPT)
.LBB1_240:
	s_or_b64 exec, exec, s[12:13]
	s_branch .LBB1_244
.LBB1_241:                              ;   in Loop: Header=BB1_244 Depth=1
	s_or_b64 exec, exec, s[12:13]
	v_readfirstlane_b32 s12, v0
	s_cmp_eq_u32 s12, 0
	s_cbranch_scc1 .LBB1_243
; %bb.242:                              ;   in Loop: Header=BB1_244 Depth=1
	s_sleep 1
	s_cbranch_execnz .LBB1_244
	s_branch .LBB1_246
.LBB1_243:
	s_branch .LBB1_246
.LBB1_244:                              ; =>This Inner Loop Header: Depth=1
	v_mov_b32_e32 v0, 1
	s_and_saveexec_b64 s[12:13], s[4:5]
	s_cbranch_execz .LBB1_241
; %bb.245:                              ;   in Loop: Header=BB1_244 Depth=1
	global_load_dword v0, v[8:9], off offset:20 glc
	s_waitcnt vmcnt(0)
	buffer_wbinvl1_vol
	v_and_b32_e32 v0, 1, v0
	s_branch .LBB1_241
.LBB1_246:
	s_and_saveexec_b64 s[12:13], s[4:5]
	s_cbranch_execz .LBB1_249
; %bb.247:
	v_mov_b32_e32 v6, 0
	global_load_dwordx2 v[2:3], v6, s[6:7] offset:40
	global_load_dwordx2 v[7:8], v6, s[6:7] offset:24 glc
	global_load_dwordx2 v[4:5], v6, s[6:7]
	v_mov_b32_e32 v1, s11
	s_mov_b64 s[4:5], 0
	s_waitcnt vmcnt(2)
	v_add_co_u32_e32 v9, vcc, 1, v2
	v_addc_co_u32_e32 v10, vcc, 0, v3, vcc
	v_add_co_u32_e32 v0, vcc, s10, v9
	v_addc_co_u32_e32 v1, vcc, v10, v1, vcc
	v_cmp_eq_u64_e32 vcc, 0, v[0:1]
	v_cndmask_b32_e32 v1, v1, v10, vcc
	v_cndmask_b32_e32 v0, v0, v9, vcc
	v_and_b32_e32 v3, v1, v3
	v_and_b32_e32 v2, v0, v2
	v_mul_lo_u32 v3, v3, 24
	v_mul_hi_u32 v9, v2, 24
	v_mul_lo_u32 v10, v2, 24
	s_waitcnt vmcnt(1)
	v_mov_b32_e32 v2, v7
	v_add_u32_e32 v3, v9, v3
	s_waitcnt vmcnt(0)
	v_add_co_u32_e32 v4, vcc, v4, v10
	v_addc_co_u32_e32 v5, vcc, v5, v3, vcc
	global_store_dwordx2 v[4:5], v[7:8], off
	v_mov_b32_e32 v3, v8
	s_waitcnt vmcnt(0)
	global_atomic_cmpswap_x2 v[2:3], v6, v[0:3], s[6:7] offset:24 glc
	s_waitcnt vmcnt(0)
	v_cmp_ne_u64_e32 vcc, v[2:3], v[7:8]
	s_and_b64 exec, exec, vcc
	s_cbranch_execz .LBB1_249
.LBB1_248:                              ; =>This Inner Loop Header: Depth=1
	s_sleep 1
	global_store_dwordx2 v[4:5], v[2:3], off
	s_waitcnt vmcnt(0)
	global_atomic_cmpswap_x2 v[7:8], v6, v[0:3], s[6:7] offset:24 glc
	s_waitcnt vmcnt(0)
	v_cmp_eq_u64_e32 vcc, v[7:8], v[2:3]
	v_mov_b32_e32 v2, v7
	s_or_b64 s[4:5], vcc, s[4:5]
	v_mov_b32_e32 v3, v8
	s_andn2_b64 exec, exec, s[4:5]
	s_cbranch_execnz .LBB1_248
.LBB1_249:
	s_or_b64 exec, exec, s[12:13]
                                        ; implicit-def: $vgpr29
	s_andn2_saveexec_b64 s[8:9], s[8:9]
	s_cbranch_execnz .LBB1_112
	s_branch .LBB1_222
.LBB1_250:
	s_cbranch_execz .LBB1_222
; %bb.251:
	v_readfirstlane_b32 s4, v29
	s_waitcnt vmcnt(0)
	v_mov_b32_e32 v8, 0
	v_mov_b32_e32 v9, 0
	v_cmp_eq_u32_e64 s[4:5], s4, v29
	s_and_saveexec_b64 s[10:11], s[4:5]
	s_cbranch_execz .LBB1_257
; %bb.252:
	v_mov_b32_e32 v2, 0
	global_load_dwordx2 v[5:6], v2, s[6:7] offset:24 glc
	s_waitcnt vmcnt(0)
	buffer_wbinvl1_vol
	global_load_dwordx2 v[3:4], v2, s[6:7] offset:40
	global_load_dwordx2 v[7:8], v2, s[6:7]
	s_waitcnt vmcnt(1)
	v_and_b32_e32 v3, v3, v5
	v_and_b32_e32 v4, v4, v6
	v_mul_lo_u32 v4, v4, 24
	v_mul_hi_u32 v9, v3, 24
	v_mul_lo_u32 v3, v3, 24
	v_add_u32_e32 v4, v9, v4
	s_waitcnt vmcnt(0)
	v_add_co_u32_e32 v3, vcc, v7, v3
	v_addc_co_u32_e32 v4, vcc, v8, v4, vcc
	global_load_dwordx2 v[3:4], v[3:4], off glc
	s_waitcnt vmcnt(0)
	global_atomic_cmpswap_x2 v[8:9], v2, v[3:6], s[6:7] offset:24 glc
	s_waitcnt vmcnt(0)
	buffer_wbinvl1_vol
	v_cmp_ne_u64_e32 vcc, v[8:9], v[5:6]
	s_and_saveexec_b64 s[12:13], vcc
	s_cbranch_execz .LBB1_256
; %bb.253:
	s_mov_b64 s[14:15], 0
.LBB1_254:                              ; =>This Inner Loop Header: Depth=1
	s_sleep 1
	global_load_dwordx2 v[3:4], v2, s[6:7] offset:40
	global_load_dwordx2 v[10:11], v2, s[6:7]
	v_mov_b32_e32 v5, v8
	v_mov_b32_e32 v6, v9
	s_waitcnt vmcnt(1)
	v_and_b32_e32 v3, v3, v5
	s_waitcnt vmcnt(0)
	v_mad_u64_u32 v[7:8], s[16:17], v3, 24, v[10:11]
	v_and_b32_e32 v4, v4, v6
	v_mov_b32_e32 v3, v8
	v_mad_u64_u32 v[3:4], s[16:17], v4, 24, v[3:4]
	v_mov_b32_e32 v8, v3
	global_load_dwordx2 v[3:4], v[7:8], off glc
	s_waitcnt vmcnt(0)
	global_atomic_cmpswap_x2 v[8:9], v2, v[3:6], s[6:7] offset:24 glc
	s_waitcnt vmcnt(0)
	buffer_wbinvl1_vol
	v_cmp_eq_u64_e32 vcc, v[8:9], v[5:6]
	s_or_b64 s[14:15], vcc, s[14:15]
	s_andn2_b64 exec, exec, s[14:15]
	s_cbranch_execnz .LBB1_254
; %bb.255:
	s_or_b64 exec, exec, s[14:15]
.LBB1_256:
	s_or_b64 exec, exec, s[12:13]
.LBB1_257:
	s_or_b64 exec, exec, s[10:11]
	v_mov_b32_e32 v2, 0
	global_load_dwordx2 v[10:11], v2, s[6:7] offset:40
	global_load_dwordx4 v[4:7], v2, s[6:7]
	v_readfirstlane_b32 s10, v8
	v_readfirstlane_b32 s11, v9
	s_mov_b64 s[12:13], exec
	s_waitcnt vmcnt(1)
	v_readfirstlane_b32 s14, v10
	v_readfirstlane_b32 s15, v11
	s_and_b64 s[14:15], s[10:11], s[14:15]
	s_mul_i32 s16, s15, 24
	s_mul_hi_u32 s17, s14, 24
	s_mul_i32 s18, s14, 24
	s_add_i32 s16, s17, s16
	v_mov_b32_e32 v3, s16
	s_waitcnt vmcnt(0)
	v_add_co_u32_e32 v8, vcc, s18, v4
	v_addc_co_u32_e32 v9, vcc, v5, v3, vcc
	s_and_saveexec_b64 s[16:17], s[4:5]
	s_cbranch_execz .LBB1_259
; %bb.258:
	v_mov_b32_e32 v10, s12
	v_mov_b32_e32 v11, s13
	;; [unrolled: 1-line block ×4, first 2 shown]
	global_store_dwordx4 v[8:9], v[10:13], off offset:8
.LBB1_259:
	s_or_b64 exec, exec, s[16:17]
	s_lshl_b64 s[12:13], s[14:15], 12
	v_mov_b32_e32 v3, s13
	v_add_co_u32_e32 v6, vcc, s12, v6
	v_addc_co_u32_e32 v7, vcc, v7, v3, vcc
	s_movk_i32 s12, 0xff1d
	v_and_or_b32 v0, v0, s12, 34
	s_mov_b32 s12, 0
	v_mov_b32_e32 v3, v2
	v_readfirstlane_b32 s16, v6
	v_readfirstlane_b32 s17, v7
	s_mov_b32 s13, s12
	s_mov_b32 s14, s12
	;; [unrolled: 1-line block ×3, first 2 shown]
	s_nop 1
	global_store_dwordx4 v30, v[0:3], s[16:17]
	s_nop 0
	v_mov_b32_e32 v0, s12
	v_mov_b32_e32 v1, s13
	;; [unrolled: 1-line block ×4, first 2 shown]
	global_store_dwordx4 v30, v[0:3], s[16:17] offset:16
	global_store_dwordx4 v30, v[0:3], s[16:17] offset:32
	;; [unrolled: 1-line block ×3, first 2 shown]
	s_and_saveexec_b64 s[12:13], s[4:5]
	s_cbranch_execz .LBB1_267
; %bb.260:
	v_mov_b32_e32 v6, 0
	global_load_dwordx2 v[12:13], v6, s[6:7] offset:32 glc
	global_load_dwordx2 v[0:1], v6, s[6:7] offset:40
	v_mov_b32_e32 v10, s10
	v_mov_b32_e32 v11, s11
	s_waitcnt vmcnt(0)
	v_readfirstlane_b32 s14, v0
	v_readfirstlane_b32 s15, v1
	s_and_b64 s[14:15], s[14:15], s[10:11]
	s_mul_i32 s15, s15, 24
	s_mul_hi_u32 s16, s14, 24
	s_mul_i32 s14, s14, 24
	s_add_i32 s15, s16, s15
	v_mov_b32_e32 v0, s15
	v_add_co_u32_e32 v4, vcc, s14, v4
	v_addc_co_u32_e32 v5, vcc, v5, v0, vcc
	global_store_dwordx2 v[4:5], v[12:13], off
	s_waitcnt vmcnt(0)
	global_atomic_cmpswap_x2 v[2:3], v6, v[10:13], s[6:7] offset:32 glc
	s_waitcnt vmcnt(0)
	v_cmp_ne_u64_e32 vcc, v[2:3], v[12:13]
	s_and_saveexec_b64 s[14:15], vcc
	s_cbranch_execz .LBB1_263
; %bb.261:
	s_mov_b64 s[16:17], 0
.LBB1_262:                              ; =>This Inner Loop Header: Depth=1
	s_sleep 1
	global_store_dwordx2 v[4:5], v[2:3], off
	v_mov_b32_e32 v0, s10
	v_mov_b32_e32 v1, s11
	s_waitcnt vmcnt(0)
	global_atomic_cmpswap_x2 v[0:1], v6, v[0:3], s[6:7] offset:32 glc
	s_waitcnt vmcnt(0)
	v_cmp_eq_u64_e32 vcc, v[0:1], v[2:3]
	v_mov_b32_e32 v3, v1
	s_or_b64 s[16:17], vcc, s[16:17]
	v_mov_b32_e32 v2, v0
	s_andn2_b64 exec, exec, s[16:17]
	s_cbranch_execnz .LBB1_262
.LBB1_263:
	s_or_b64 exec, exec, s[14:15]
	v_mov_b32_e32 v3, 0
	global_load_dwordx2 v[0:1], v3, s[6:7] offset:16
	s_mov_b64 s[14:15], exec
	v_mbcnt_lo_u32_b32 v2, s14, 0
	v_mbcnt_hi_u32_b32 v2, s15, v2
	v_cmp_eq_u32_e32 vcc, 0, v2
	s_and_saveexec_b64 s[16:17], vcc
	s_cbranch_execz .LBB1_265
; %bb.264:
	s_bcnt1_i32_b64 s14, s[14:15]
	v_mov_b32_e32 v2, s14
	s_waitcnt vmcnt(0)
	global_atomic_add_x2 v[0:1], v[2:3], off offset:8
.LBB1_265:
	s_or_b64 exec, exec, s[16:17]
	s_waitcnt vmcnt(0)
	global_load_dwordx2 v[2:3], v[0:1], off offset:16
	s_waitcnt vmcnt(0)
	v_cmp_eq_u64_e32 vcc, 0, v[2:3]
	s_cbranch_vccnz .LBB1_267
; %bb.266:
	global_load_dword v0, v[0:1], off offset:24
	v_mov_b32_e32 v1, 0
	s_waitcnt vmcnt(0)
	global_store_dwordx2 v[2:3], v[0:1], off
	v_and_b32_e32 v0, 0xffffff, v0
	v_readfirstlane_b32 m0, v0
	s_sendmsg sendmsg(MSG_INTERRUPT)
.LBB1_267:
	s_or_b64 exec, exec, s[12:13]
	s_branch .LBB1_271
.LBB1_268:                              ;   in Loop: Header=BB1_271 Depth=1
	s_or_b64 exec, exec, s[12:13]
	v_readfirstlane_b32 s12, v0
	s_cmp_eq_u32 s12, 0
	s_cbranch_scc1 .LBB1_270
; %bb.269:                              ;   in Loop: Header=BB1_271 Depth=1
	s_sleep 1
	s_cbranch_execnz .LBB1_271
	s_branch .LBB1_273
.LBB1_270:
	s_branch .LBB1_273
.LBB1_271:                              ; =>This Inner Loop Header: Depth=1
	v_mov_b32_e32 v0, 1
	s_and_saveexec_b64 s[12:13], s[4:5]
	s_cbranch_execz .LBB1_268
; %bb.272:                              ;   in Loop: Header=BB1_271 Depth=1
	global_load_dword v0, v[8:9], off offset:20 glc
	s_waitcnt vmcnt(0)
	buffer_wbinvl1_vol
	v_and_b32_e32 v0, 1, v0
	s_branch .LBB1_268
.LBB1_273:
	s_and_saveexec_b64 s[12:13], s[4:5]
	s_cbranch_execz .LBB1_276
; %bb.274:
	v_mov_b32_e32 v6, 0
	global_load_dwordx2 v[2:3], v6, s[6:7] offset:40
	global_load_dwordx2 v[7:8], v6, s[6:7] offset:24 glc
	global_load_dwordx2 v[4:5], v6, s[6:7]
	v_mov_b32_e32 v1, s11
	s_mov_b64 s[4:5], 0
	s_waitcnt vmcnt(2)
	v_add_co_u32_e32 v9, vcc, 1, v2
	v_addc_co_u32_e32 v10, vcc, 0, v3, vcc
	v_add_co_u32_e32 v0, vcc, s10, v9
	v_addc_co_u32_e32 v1, vcc, v10, v1, vcc
	v_cmp_eq_u64_e32 vcc, 0, v[0:1]
	v_cndmask_b32_e32 v1, v1, v10, vcc
	v_cndmask_b32_e32 v0, v0, v9, vcc
	v_and_b32_e32 v3, v1, v3
	v_and_b32_e32 v2, v0, v2
	v_mul_lo_u32 v3, v3, 24
	v_mul_hi_u32 v9, v2, 24
	v_mul_lo_u32 v10, v2, 24
	s_waitcnt vmcnt(1)
	v_mov_b32_e32 v2, v7
	v_add_u32_e32 v3, v9, v3
	s_waitcnt vmcnt(0)
	v_add_co_u32_e32 v4, vcc, v4, v10
	v_addc_co_u32_e32 v5, vcc, v5, v3, vcc
	global_store_dwordx2 v[4:5], v[7:8], off
	v_mov_b32_e32 v3, v8
	s_waitcnt vmcnt(0)
	global_atomic_cmpswap_x2 v[2:3], v6, v[0:3], s[6:7] offset:24 glc
	s_waitcnt vmcnt(0)
	v_cmp_ne_u64_e32 vcc, v[2:3], v[7:8]
	s_and_b64 exec, exec, vcc
	s_cbranch_execz .LBB1_276
.LBB1_275:                              ; =>This Inner Loop Header: Depth=1
	s_sleep 1
	global_store_dwordx2 v[4:5], v[2:3], off
	s_waitcnt vmcnt(0)
	global_atomic_cmpswap_x2 v[7:8], v6, v[0:3], s[6:7] offset:24 glc
	s_waitcnt vmcnt(0)
	v_cmp_eq_u64_e32 vcc, v[7:8], v[2:3]
	v_mov_b32_e32 v2, v7
	s_or_b64 s[4:5], vcc, s[4:5]
	v_mov_b32_e32 v3, v8
	s_andn2_b64 exec, exec, s[4:5]
	s_cbranch_execnz .LBB1_275
.LBB1_276:
	s_or_b64 exec, exec, s[12:13]
	s_or_b64 exec, exec, s[8:9]
	s_waitcnt vmcnt(0) lgkmcnt(0)
	s_setpc_b64 s[30:31]
.Lfunc_end1:
	.size	_ZN8migraphx4test12print_streamIKNS_13basic_printerIZNS_4coutEvEUlT_E_EEPiEEvRS3_RKT0_, .Lfunc_end1-_ZN8migraphx4test12print_streamIKNS_13basic_printerIZNS_4coutEvEUlT_E_EEPiEEvRS3_RKT0_
                                        ; -- End function
	.section	.AMDGPU.csdata,"",@progbits
; Function info:
; codeLenInByte = 9228
; NumSgprs: 36
; NumVgprs: 32
; ScratchSize: 0
; MemoryBound: 0
	.text
	.p2align	2                               ; -- Begin function _ZN8migraphx4test4failEv
	.type	_ZN8migraphx4test4failEv,@function
_ZN8migraphx4test4failEv:               ; @_ZN8migraphx4test4failEv
; %bb.0:
	s_waitcnt vmcnt(0) expcnt(0) lgkmcnt(0)
	v_mov_b32_e32 v0, 0
	global_load_dword v1, v0, s[8:9] offset:18
	global_load_ushort v2, v0, s[8:9] offset:22
	s_load_dwordx2 s[6:7], s[8:9], 0x0
	s_load_dword s10, s[8:9], 0x8
	s_waitcnt vmcnt(1)
	v_cmp_ne_u16_e32 vcc, 0, v1
	s_cmp_lg_u64 vcc, 0
	v_cmp_ne_u16_sdwa s[16:17], v1, v0 src0_sel:WORD_1 src1_sel:DWORD
	s_waitcnt lgkmcnt(0)
	s_addc_u32 s11, s6, 0
	s_cmp_lg_u64 s[16:17], 0
	s_waitcnt vmcnt(0)
	v_cmp_ne_u16_e64 s[4:5], 0, v2
	s_addc_u32 s15, s7, 0
	s_cmp_lg_u64 s[4:5], 0
	s_mul_i32 s11, s15, s11
	s_addc_u32 s4, s10, 0
	s_mul_i32 s11, s11, s4
	s_cmp_lg_u32 s11, 1
	s_cbranch_scc1 .LBB2_3
; %bb.1:
	s_cmp_lt_u32 s14, s10
	s_cselect_b32 s4, 16, 22
	s_add_u32 s4, s8, s4
	s_addc_u32 s5, s9, 0
	s_cmp_lt_u32 s13, s7
	s_cselect_b32 s7, 14, 20
	s_add_u32 s10, s8, s7
	s_addc_u32 s11, s9, 0
	s_cmp_lt_u32 s12, s6
	global_load_ushort v1, v0, s[4:5]
	global_load_ushort v2, v0, s[10:11]
	s_cselect_b32 s4, 12, 18
	s_add_u32 s4, s8, s4
	s_addc_u32 s5, s9, 0
	global_load_ushort v0, v0, s[4:5]
	s_waitcnt vmcnt(1)
	v_mul_lo_u32 v1, v2, v1
	s_waitcnt vmcnt(0)
	v_mul_lo_u32 v0, v1, v0
	v_cmp_lt_u32_e32 vcc, 64, v0
	s_cbranch_vccnz .LBB2_3
; %bb.2:
	s_endpgm
.LBB2_3:
	s_trap 2
.Lfunc_end2:
	.size	_ZN8migraphx4test4failEv, .Lfunc_end2-_ZN8migraphx4test4failEv
                                        ; -- End function
	.section	.AMDGPU.csdata,"",@progbits
; Function info:
; codeLenInByte = 224
; NumSgprs: 22
; NumVgprs: 3
; ScratchSize: 0
; MemoryBound: 0
	.text
	.p2align	2                               ; -- Begin function _ZL37search_pattern_appears_multiple_timesRN8migraphx4test12test_managerE
	.type	_ZL37search_pattern_appears_multiple_timesRN8migraphx4test12test_managerE,@function
_ZL37search_pattern_appears_multiple_timesRN8migraphx4test12test_managerE: ; @_ZL37search_pattern_appears_multiple_timesRN8migraphx4test12test_managerE
; %bb.0:
	s_waitcnt vmcnt(0) expcnt(0) lgkmcnt(0)
	s_mov_b32 s4, s33
	s_mov_b32 s33, s32
	s_or_saveexec_b64 s[6:7], -1
	buffer_store_dword v40, off, s[0:3], s33 offset:36 ; 4-byte Folded Spill
	s_mov_b64 exec, s[6:7]
	v_writelane_b32 v40, s4, 2
	v_writelane_b32 v40, s30, 0
	s_addk_i32 s32, 0xc00
	v_writelane_b32 v40, s31, 1
	v_mov_b32_e32 v37, v1
	v_mov_b32_e32 v36, v0
	;; [unrolled: 1-line block ×3, first 2 shown]
	v_lshrrev_b32_e64 v6, 6, s33
	v_mov_b32_e32 v1, 2
	v_mov_b32_e32 v2, 3
	s_mov_b64 s[4:5], src_private_base
	buffer_store_dword v0, off, s[0:3], s33
	v_add_u32_e32 v38, 4, v6
	buffer_store_dword v1, off, s[0:3], s33 offset:4
	buffer_store_dword v2, off, s[0:3], s33 offset:8
	;; [unrolled: 1-line block ×8, first 2 shown]
	v_add_u32_e32 v0, 36, v6
	v_mov_b32_e32 v1, s5
	s_mov_b32 s4, 0
	s_mov_b64 s[6:7], 0
                                        ; implicit-def: $sgpr10_sgpr11
                                        ; implicit-def: $vgpr2_vgpr3
	s_branch .LBB3_4
.LBB3_1:                                ;   in Loop: Header=BB3_4 Depth=1
	v_mov_b32_e32 v2, v4
	s_orn2_b64 s[10:11], s[10:11], exec
	v_mov_b32_e32 v3, v5
.LBB3_2:                                ;   in Loop: Header=BB3_4 Depth=1
	s_or_b64 exec, exec, s[16:17]
	v_mov_b32_e32 v49, v3
	v_mov_b32_e32 v48, v2
.LBB3_3:                                ;   in Loop: Header=BB3_4 Depth=1
	s_xor_b64 s[16:17], s[10:11], -1
	s_add_i32 s4, s4, 4
	s_and_b64 s[16:17], exec, s[16:17]
	v_mov_b32_e32 v2, v48
	s_or_b64 s[6:7], s[16:17], s[6:7]
	v_mov_b32_e32 v3, v49
	s_andn2_b64 exec, exec, s[6:7]
	s_cbranch_execz .LBB3_8
.LBB3_4:                                ; =>This Inner Loop Header: Depth=1
	s_andn2_b64 s[10:11], s[10:11], exec
	v_mov_b32_e32 v49, v1
	s_cmp_eq_u32 s4, 36
	v_mov_b32_e32 v48, v0
	s_cbranch_scc1 .LBB3_3
; %bb.5:                                ;   in Loop: Header=BB3_4 Depth=1
	v_add_u32_e32 v7, s4, v6
	buffer_load_dword v4, v7, s[0:3], 0 offen
	s_mov_b64 s[10:11], -1
	s_waitcnt vmcnt(0)
	v_cmp_eq_u32_e32 vcc, 2, v4
	s_and_saveexec_b64 s[16:17], vcc
	s_cbranch_execz .LBB3_2
; %bb.6:                                ;   in Loop: Header=BB3_4 Depth=1
	v_mov_b32_e32 v5, v1
	s_mov_b64 s[10:11], 0
	s_cmp_eq_u32 s4, 32
	v_mov_b32_e32 v4, v0
	s_cbranch_scc1 .LBB3_1
; %bb.7:                                ;   in Loop: Header=BB3_4 Depth=1
	buffer_load_dword v4, v7, s[0:3], 0 offen offset:4
	v_mov_b32_e32 v5, s5
	s_waitcnt vmcnt(0)
	v_cmp_ne_u32_e32 vcc, 3, v4
	v_cndmask_b32_e32 v5, v5, v3, vcc
	v_cndmask_b32_e32 v4, v7, v2, vcc
	s_and_b64 s[10:11], vcc, exec
	s_branch .LBB3_1
.LBB3_8:
	s_or_b64 exec, exec, s[6:7]
	s_mov_b64 s[38:39], src_private_base
	v_mov_b32_e32 v39, s39
	v_cmp_ne_u64_e32 vcc, v[48:49], v[38:39]
	s_and_saveexec_b64 s[4:5], vcc
	s_xor_b64 s[28:29], exec, s[4:5]
	s_cbranch_execz .LBB3_1732
; %bb.9:
	v_and_b32_e32 v0, 0x3ff, v31
	v_cmp_eq_u32_e32 vcc, 0, v0
	s_and_saveexec_b64 s[34:35], vcc
	s_cbranch_execz .LBB3_1731
; %bb.10:
	s_load_dwordx2 s[36:37], s[8:9], 0x50
	v_mbcnt_lo_u32_b32 v0, -1, 0
	v_mbcnt_hi_u32_b32 v50, -1, v0
	v_readfirstlane_b32 s4, v50
	v_mov_b32_e32 v5, 0
	v_mov_b32_e32 v6, 0
	v_cmp_eq_u32_e64 s[4:5], s4, v50
	s_and_saveexec_b64 s[6:7], s[4:5]
	s_cbranch_execz .LBB3_16
; %bb.11:
	v_mov_b32_e32 v0, 0
	s_waitcnt lgkmcnt(0)
	global_load_dwordx2 v[3:4], v0, s[36:37] offset:24 glc
	s_waitcnt vmcnt(0)
	buffer_wbinvl1_vol
	global_load_dwordx2 v[1:2], v0, s[36:37] offset:40
	global_load_dwordx2 v[5:6], v0, s[36:37]
	s_waitcnt vmcnt(1)
	v_and_b32_e32 v1, v1, v3
	v_and_b32_e32 v2, v2, v4
	v_mul_lo_u32 v2, v2, 24
	v_mul_hi_u32 v7, v1, 24
	v_mul_lo_u32 v1, v1, 24
	v_add_u32_e32 v2, v7, v2
	s_waitcnt vmcnt(0)
	v_add_co_u32_e32 v1, vcc, v5, v1
	v_addc_co_u32_e32 v2, vcc, v6, v2, vcc
	global_load_dwordx2 v[1:2], v[1:2], off glc
	s_waitcnt vmcnt(0)
	global_atomic_cmpswap_x2 v[5:6], v0, v[1:4], s[36:37] offset:24 glc
	s_waitcnt vmcnt(0)
	buffer_wbinvl1_vol
	v_cmp_ne_u64_e32 vcc, v[5:6], v[3:4]
	s_and_saveexec_b64 s[10:11], vcc
	s_cbranch_execz .LBB3_15
; %bb.12:
	s_mov_b64 s[16:17], 0
.LBB3_13:                               ; =>This Inner Loop Header: Depth=1
	s_sleep 1
	global_load_dwordx2 v[1:2], v0, s[36:37] offset:40
	global_load_dwordx2 v[7:8], v0, s[36:37]
	v_mov_b32_e32 v3, v5
	v_mov_b32_e32 v4, v6
	s_waitcnt vmcnt(1)
	v_and_b32_e32 v1, v1, v3
	s_waitcnt vmcnt(0)
	v_mad_u64_u32 v[5:6], s[18:19], v1, 24, v[7:8]
	v_and_b32_e32 v2, v2, v4
	v_mov_b32_e32 v1, v6
	v_mad_u64_u32 v[1:2], s[18:19], v2, 24, v[1:2]
	v_mov_b32_e32 v6, v1
	global_load_dwordx2 v[1:2], v[5:6], off glc
	s_waitcnt vmcnt(0)
	global_atomic_cmpswap_x2 v[5:6], v0, v[1:4], s[36:37] offset:24 glc
	s_waitcnt vmcnt(0)
	buffer_wbinvl1_vol
	v_cmp_eq_u64_e32 vcc, v[5:6], v[3:4]
	s_or_b64 s[16:17], vcc, s[16:17]
	s_andn2_b64 exec, exec, s[16:17]
	s_cbranch_execnz .LBB3_13
; %bb.14:
	s_or_b64 exec, exec, s[16:17]
.LBB3_15:
	s_or_b64 exec, exec, s[10:11]
.LBB3_16:
	s_or_b64 exec, exec, s[6:7]
	v_mov_b32_e32 v4, 0
	s_waitcnt lgkmcnt(0)
	global_load_dwordx2 v[7:8], v4, s[36:37] offset:40
	global_load_dwordx4 v[0:3], v4, s[36:37]
	v_readfirstlane_b32 s6, v5
	v_readfirstlane_b32 s7, v6
	s_mov_b64 s[10:11], exec
	s_waitcnt vmcnt(1)
	v_readfirstlane_b32 s16, v7
	v_readfirstlane_b32 s17, v8
	s_and_b64 s[16:17], s[6:7], s[16:17]
	s_mul_i32 s15, s17, 24
	s_mul_hi_u32 s18, s16, 24
	s_mul_i32 s19, s16, 24
	s_add_i32 s15, s18, s15
	v_mov_b32_e32 v5, s15
	s_waitcnt vmcnt(0)
	v_add_co_u32_e32 v7, vcc, s19, v0
	v_addc_co_u32_e32 v8, vcc, v1, v5, vcc
	s_and_saveexec_b64 s[18:19], s[4:5]
	s_cbranch_execz .LBB3_18
; %bb.17:
	v_mov_b32_e32 v9, s10
	v_mov_b32_e32 v10, s11
	;; [unrolled: 1-line block ×4, first 2 shown]
	global_store_dwordx4 v[7:8], v[9:12], off offset:8
.LBB3_18:
	s_or_b64 exec, exec, s[18:19]
	s_lshl_b64 s[10:11], s[16:17], 12
	v_mov_b32_e32 v5, s11
	v_add_co_u32_e32 v2, vcc, s10, v2
	v_addc_co_u32_e32 v11, vcc, v3, v5, vcc
	s_mov_b32 s16, 0
	v_lshlrev_b32_e32 v39, 6, v50
	v_mov_b32_e32 v3, 33
	v_mov_b32_e32 v5, v4
	;; [unrolled: 1-line block ×3, first 2 shown]
	v_readfirstlane_b32 s10, v2
	v_readfirstlane_b32 s11, v11
	v_add_co_u32_e32 v9, vcc, v2, v39
	s_mov_b32 s17, s16
	s_mov_b32 s18, s16
	;; [unrolled: 1-line block ×3, first 2 shown]
	s_nop 0
	global_store_dwordx4 v39, v[3:6], s[10:11]
	v_mov_b32_e32 v2, s16
	v_addc_co_u32_e32 v10, vcc, 0, v11, vcc
	v_mov_b32_e32 v3, s17
	v_mov_b32_e32 v4, s18
	;; [unrolled: 1-line block ×3, first 2 shown]
	global_store_dwordx4 v39, v[2:5], s[10:11] offset:16
	global_store_dwordx4 v39, v[2:5], s[10:11] offset:32
	;; [unrolled: 1-line block ×3, first 2 shown]
	s_and_saveexec_b64 s[10:11], s[4:5]
	s_cbranch_execz .LBB3_26
; %bb.19:
	v_mov_b32_e32 v6, 0
	global_load_dwordx2 v[13:14], v6, s[36:37] offset:32 glc
	global_load_dwordx2 v[2:3], v6, s[36:37] offset:40
	v_mov_b32_e32 v11, s6
	v_mov_b32_e32 v12, s7
	s_waitcnt vmcnt(0)
	v_and_b32_e32 v2, s6, v2
	v_and_b32_e32 v3, s7, v3
	v_mul_lo_u32 v3, v3, 24
	v_mul_hi_u32 v4, v2, 24
	v_mul_lo_u32 v2, v2, 24
	v_add_u32_e32 v3, v4, v3
	v_add_co_u32_e32 v4, vcc, v0, v2
	v_addc_co_u32_e32 v5, vcc, v1, v3, vcc
	global_store_dwordx2 v[4:5], v[13:14], off
	s_waitcnt vmcnt(0)
	global_atomic_cmpswap_x2 v[2:3], v6, v[11:14], s[36:37] offset:32 glc
	s_waitcnt vmcnt(0)
	v_cmp_ne_u64_e32 vcc, v[2:3], v[13:14]
	s_and_saveexec_b64 s[16:17], vcc
	s_cbranch_execz .LBB3_22
; %bb.20:
	s_mov_b64 s[18:19], 0
.LBB3_21:                               ; =>This Inner Loop Header: Depth=1
	s_sleep 1
	global_store_dwordx2 v[4:5], v[2:3], off
	v_mov_b32_e32 v0, s6
	v_mov_b32_e32 v1, s7
	s_waitcnt vmcnt(0)
	global_atomic_cmpswap_x2 v[0:1], v6, v[0:3], s[36:37] offset:32 glc
	s_waitcnt vmcnt(0)
	v_cmp_eq_u64_e32 vcc, v[0:1], v[2:3]
	v_mov_b32_e32 v3, v1
	s_or_b64 s[18:19], vcc, s[18:19]
	v_mov_b32_e32 v2, v0
	s_andn2_b64 exec, exec, s[18:19]
	s_cbranch_execnz .LBB3_21
.LBB3_22:
	s_or_b64 exec, exec, s[16:17]
	v_mov_b32_e32 v3, 0
	global_load_dwordx2 v[0:1], v3, s[36:37] offset:16
	s_mov_b64 s[16:17], exec
	v_mbcnt_lo_u32_b32 v2, s16, 0
	v_mbcnt_hi_u32_b32 v2, s17, v2
	v_cmp_eq_u32_e32 vcc, 0, v2
	s_and_saveexec_b64 s[18:19], vcc
	s_cbranch_execz .LBB3_24
; %bb.23:
	s_bcnt1_i32_b64 s15, s[16:17]
	v_mov_b32_e32 v2, s15
	s_waitcnt vmcnt(0)
	global_atomic_add_x2 v[0:1], v[2:3], off offset:8
.LBB3_24:
	s_or_b64 exec, exec, s[18:19]
	s_waitcnt vmcnt(0)
	global_load_dwordx2 v[2:3], v[0:1], off offset:16
	s_waitcnt vmcnt(0)
	v_cmp_eq_u64_e32 vcc, 0, v[2:3]
	s_cbranch_vccnz .LBB3_26
; %bb.25:
	global_load_dword v0, v[0:1], off offset:24
	v_mov_b32_e32 v1, 0
	s_waitcnt vmcnt(0)
	global_store_dwordx2 v[2:3], v[0:1], off
	v_and_b32_e32 v0, 0xffffff, v0
	v_readfirstlane_b32 m0, v0
	s_sendmsg sendmsg(MSG_INTERRUPT)
.LBB3_26:
	s_or_b64 exec, exec, s[10:11]
	s_branch .LBB3_30
.LBB3_27:                               ;   in Loop: Header=BB3_30 Depth=1
	s_or_b64 exec, exec, s[10:11]
	v_readfirstlane_b32 s10, v0
	s_cmp_eq_u32 s10, 0
	s_cbranch_scc1 .LBB3_29
; %bb.28:                               ;   in Loop: Header=BB3_30 Depth=1
	s_sleep 1
	s_cbranch_execnz .LBB3_30
	s_branch .LBB3_32
.LBB3_29:
	s_branch .LBB3_32
.LBB3_30:                               ; =>This Inner Loop Header: Depth=1
	v_mov_b32_e32 v0, 1
	s_and_saveexec_b64 s[10:11], s[4:5]
	s_cbranch_execz .LBB3_27
; %bb.31:                               ;   in Loop: Header=BB3_30 Depth=1
	global_load_dword v0, v[7:8], off offset:20 glc
	s_waitcnt vmcnt(0)
	buffer_wbinvl1_vol
	v_and_b32_e32 v0, 1, v0
	s_branch .LBB3_27
.LBB3_32:
	global_load_dwordx2 v[4:5], v[9:10], off
	s_and_saveexec_b64 s[10:11], s[4:5]
	s_cbranch_execz .LBB3_35
; %bb.33:
	v_mov_b32_e32 v8, 0
	global_load_dwordx2 v[2:3], v8, s[36:37] offset:40
	global_load_dwordx2 v[9:10], v8, s[36:37] offset:24 glc
	global_load_dwordx2 v[6:7], v8, s[36:37]
	v_mov_b32_e32 v1, s7
	s_mov_b64 s[4:5], 0
	s_waitcnt vmcnt(2)
	v_add_co_u32_e32 v11, vcc, 1, v2
	v_addc_co_u32_e32 v12, vcc, 0, v3, vcc
	v_add_co_u32_e32 v0, vcc, s6, v11
	v_addc_co_u32_e32 v1, vcc, v12, v1, vcc
	v_cmp_eq_u64_e32 vcc, 0, v[0:1]
	v_cndmask_b32_e32 v1, v1, v12, vcc
	v_cndmask_b32_e32 v0, v0, v11, vcc
	v_and_b32_e32 v3, v1, v3
	v_and_b32_e32 v2, v0, v2
	v_mul_lo_u32 v3, v3, 24
	v_mul_hi_u32 v11, v2, 24
	v_mul_lo_u32 v12, v2, 24
	s_waitcnt vmcnt(1)
	v_mov_b32_e32 v2, v9
	v_add_u32_e32 v3, v11, v3
	s_waitcnt vmcnt(0)
	v_add_co_u32_e32 v6, vcc, v6, v12
	v_addc_co_u32_e32 v7, vcc, v7, v3, vcc
	global_store_dwordx2 v[6:7], v[9:10], off
	v_mov_b32_e32 v3, v10
	s_waitcnt vmcnt(0)
	global_atomic_cmpswap_x2 v[2:3], v8, v[0:3], s[36:37] offset:24 glc
	s_waitcnt vmcnt(0)
	v_cmp_ne_u64_e32 vcc, v[2:3], v[9:10]
	s_and_b64 exec, exec, vcc
	s_cbranch_execz .LBB3_35
.LBB3_34:                               ; =>This Inner Loop Header: Depth=1
	s_sleep 1
	global_store_dwordx2 v[6:7], v[2:3], off
	s_waitcnt vmcnt(0)
	global_atomic_cmpswap_x2 v[9:10], v8, v[0:3], s[36:37] offset:24 glc
	s_waitcnt vmcnt(0)
	v_cmp_eq_u64_e32 vcc, v[9:10], v[2:3]
	v_mov_b32_e32 v2, v9
	s_or_b64 s[4:5], vcc, s[4:5]
	v_mov_b32_e32 v3, v10
	s_andn2_b64 exec, exec, s[4:5]
	s_cbranch_execnz .LBB3_34
.LBB3_35:
	s_or_b64 exec, exec, s[10:11]
	s_getpc_b64 s[10:11]
	s_add_u32 s10, s10, .str.5@rel32@lo+4
	s_addc_u32 s11, s11, .str.5@rel32@hi+12
	s_cmp_lg_u64 s[10:11], 0
	s_cselect_b64 s[6:7], -1, 0
	s_and_b64 vcc, exec, s[6:7]
	s_cbranch_vccz .LBB3_120
; %bb.36:
	s_waitcnt vmcnt(0)
	v_and_b32_e32 v29, 2, v4
	v_mov_b32_e32 v26, 0
	v_and_b32_e32 v0, -3, v4
	v_mov_b32_e32 v1, v5
	s_mov_b64 s[16:17], 3
	v_mov_b32_e32 v8, 2
	v_mov_b32_e32 v9, 1
	s_branch .LBB3_38
.LBB3_37:                               ;   in Loop: Header=BB3_38 Depth=1
	s_or_b64 exec, exec, s[22:23]
	s_sub_u32 s16, s16, s18
	s_subb_u32 s17, s17, s19
	s_add_u32 s10, s10, s18
	s_addc_u32 s11, s11, s19
	s_cmp_lg_u64 s[16:17], 0
	s_cbranch_scc0 .LBB3_119
.LBB3_38:                               ; =>This Loop Header: Depth=1
                                        ;     Child Loop BB3_41 Depth 2
                                        ;     Child Loop BB3_48 Depth 2
	;; [unrolled: 1-line block ×11, first 2 shown]
	v_cmp_lt_u64_e64 s[4:5], s[16:17], 56
	v_cmp_gt_u64_e64 s[20:21], s[16:17], 7
	s_and_b64 s[4:5], s[4:5], exec
	s_cselect_b32 s19, s17, 0
	s_cselect_b32 s18, s16, 56
	s_and_b64 vcc, exec, s[20:21]
	s_cbranch_vccnz .LBB3_43
; %bb.39:                               ;   in Loop: Header=BB3_38 Depth=1
	s_waitcnt vmcnt(0)
	v_mov_b32_e32 v2, 0
	s_cmp_eq_u64 s[16:17], 0
	v_mov_b32_e32 v3, 0
	s_mov_b64 s[4:5], 0
	s_cbranch_scc1 .LBB3_42
; %bb.40:                               ;   in Loop: Header=BB3_38 Depth=1
	v_mov_b32_e32 v2, 0
	s_lshl_b64 s[20:21], s[18:19], 3
	s_mov_b64 s[22:23], 0
	v_mov_b32_e32 v3, 0
	s_mov_b64 s[24:25], s[10:11]
.LBB3_41:                               ;   Parent Loop BB3_38 Depth=1
                                        ; =>  This Inner Loop Header: Depth=2
	global_load_ubyte v6, v26, s[24:25]
	s_waitcnt vmcnt(0)
	v_and_b32_e32 v25, 0xffff, v6
	v_lshlrev_b64 v[6:7], s22, v[25:26]
	s_add_u32 s22, s22, 8
	s_addc_u32 s23, s23, 0
	s_add_u32 s24, s24, 1
	s_addc_u32 s25, s25, 0
	v_or_b32_e32 v2, v6, v2
	s_cmp_lg_u32 s20, s22
	v_or_b32_e32 v3, v7, v3
	s_cbranch_scc1 .LBB3_41
.LBB3_42:                               ;   in Loop: Header=BB3_38 Depth=1
	s_mov_b32 s15, 0
	s_andn2_b64 vcc, exec, s[4:5]
	s_mov_b64 s[4:5], s[10:11]
	s_cbranch_vccz .LBB3_44
	s_branch .LBB3_45
.LBB3_43:                               ;   in Loop: Header=BB3_38 Depth=1
                                        ; implicit-def: $vgpr2_vgpr3
                                        ; implicit-def: $sgpr15
	s_mov_b64 s[4:5], s[10:11]
.LBB3_44:                               ;   in Loop: Header=BB3_38 Depth=1
	global_load_dwordx2 v[2:3], v26, s[10:11]
	s_add_i32 s15, s18, -8
	s_add_u32 s4, s10, 8
	s_addc_u32 s5, s11, 0
.LBB3_45:                               ;   in Loop: Header=BB3_38 Depth=1
	s_cmp_gt_u32 s15, 7
	s_cbranch_scc1 .LBB3_49
; %bb.46:                               ;   in Loop: Header=BB3_38 Depth=1
	s_cmp_eq_u32 s15, 0
	s_cbranch_scc1 .LBB3_50
; %bb.47:                               ;   in Loop: Header=BB3_38 Depth=1
	v_mov_b32_e32 v10, 0
	s_mov_b64 s[20:21], 0
	v_mov_b32_e32 v11, 0
	s_mov_b64 s[22:23], 0
.LBB3_48:                               ;   Parent Loop BB3_38 Depth=1
                                        ; =>  This Inner Loop Header: Depth=2
	s_add_u32 s24, s4, s22
	s_addc_u32 s25, s5, s23
	global_load_ubyte v6, v26, s[24:25]
	s_add_u32 s22, s22, 1
	s_addc_u32 s23, s23, 0
	s_waitcnt vmcnt(0)
	v_and_b32_e32 v25, 0xffff, v6
	v_lshlrev_b64 v[6:7], s20, v[25:26]
	s_add_u32 s20, s20, 8
	s_addc_u32 s21, s21, 0
	v_or_b32_e32 v10, v6, v10
	s_cmp_lg_u32 s15, s22
	v_or_b32_e32 v11, v7, v11
	s_cbranch_scc1 .LBB3_48
	s_branch .LBB3_51
.LBB3_49:                               ;   in Loop: Header=BB3_38 Depth=1
                                        ; implicit-def: $vgpr10_vgpr11
                                        ; implicit-def: $sgpr24
	s_branch .LBB3_52
.LBB3_50:                               ;   in Loop: Header=BB3_38 Depth=1
	v_mov_b32_e32 v10, 0
	v_mov_b32_e32 v11, 0
.LBB3_51:                               ;   in Loop: Header=BB3_38 Depth=1
	s_mov_b32 s24, 0
	s_cbranch_execnz .LBB3_53
.LBB3_52:                               ;   in Loop: Header=BB3_38 Depth=1
	global_load_dwordx2 v[10:11], v26, s[4:5]
	s_add_i32 s24, s15, -8
	s_add_u32 s4, s4, 8
	s_addc_u32 s5, s5, 0
.LBB3_53:                               ;   in Loop: Header=BB3_38 Depth=1
	s_cmp_gt_u32 s24, 7
	s_cbranch_scc1 .LBB3_57
; %bb.54:                               ;   in Loop: Header=BB3_38 Depth=1
	s_cmp_eq_u32 s24, 0
	s_cbranch_scc1 .LBB3_58
; %bb.55:                               ;   in Loop: Header=BB3_38 Depth=1
	v_mov_b32_e32 v12, 0
	s_mov_b64 s[20:21], 0
	v_mov_b32_e32 v13, 0
	s_mov_b64 s[22:23], 0
.LBB3_56:                               ;   Parent Loop BB3_38 Depth=1
                                        ; =>  This Inner Loop Header: Depth=2
	s_add_u32 s26, s4, s22
	s_addc_u32 s27, s5, s23
	global_load_ubyte v6, v26, s[26:27]
	s_add_u32 s22, s22, 1
	s_addc_u32 s23, s23, 0
	s_waitcnt vmcnt(0)
	v_and_b32_e32 v25, 0xffff, v6
	v_lshlrev_b64 v[6:7], s20, v[25:26]
	s_add_u32 s20, s20, 8
	s_addc_u32 s21, s21, 0
	v_or_b32_e32 v12, v6, v12
	s_cmp_lg_u32 s24, s22
	v_or_b32_e32 v13, v7, v13
	s_cbranch_scc1 .LBB3_56
	s_branch .LBB3_59
.LBB3_57:                               ;   in Loop: Header=BB3_38 Depth=1
                                        ; implicit-def: $sgpr15
	s_branch .LBB3_60
.LBB3_58:                               ;   in Loop: Header=BB3_38 Depth=1
	v_mov_b32_e32 v12, 0
	v_mov_b32_e32 v13, 0
.LBB3_59:                               ;   in Loop: Header=BB3_38 Depth=1
	s_mov_b32 s15, 0
	s_cbranch_execnz .LBB3_61
.LBB3_60:                               ;   in Loop: Header=BB3_38 Depth=1
	global_load_dwordx2 v[12:13], v26, s[4:5]
	s_add_i32 s15, s24, -8
	s_add_u32 s4, s4, 8
	s_addc_u32 s5, s5, 0
.LBB3_61:                               ;   in Loop: Header=BB3_38 Depth=1
	s_cmp_gt_u32 s15, 7
	s_cbranch_scc1 .LBB3_65
; %bb.62:                               ;   in Loop: Header=BB3_38 Depth=1
	s_cmp_eq_u32 s15, 0
	s_cbranch_scc1 .LBB3_66
; %bb.63:                               ;   in Loop: Header=BB3_38 Depth=1
	v_mov_b32_e32 v14, 0
	s_mov_b64 s[20:21], 0
	v_mov_b32_e32 v15, 0
	s_mov_b64 s[22:23], 0
.LBB3_64:                               ;   Parent Loop BB3_38 Depth=1
                                        ; =>  This Inner Loop Header: Depth=2
	s_add_u32 s24, s4, s22
	s_addc_u32 s25, s5, s23
	global_load_ubyte v6, v26, s[24:25]
	s_add_u32 s22, s22, 1
	s_addc_u32 s23, s23, 0
	s_waitcnt vmcnt(0)
	v_and_b32_e32 v25, 0xffff, v6
	v_lshlrev_b64 v[6:7], s20, v[25:26]
	s_add_u32 s20, s20, 8
	s_addc_u32 s21, s21, 0
	v_or_b32_e32 v14, v6, v14
	s_cmp_lg_u32 s15, s22
	v_or_b32_e32 v15, v7, v15
	s_cbranch_scc1 .LBB3_64
	s_branch .LBB3_67
.LBB3_65:                               ;   in Loop: Header=BB3_38 Depth=1
                                        ; implicit-def: $vgpr14_vgpr15
                                        ; implicit-def: $sgpr24
	s_branch .LBB3_68
.LBB3_66:                               ;   in Loop: Header=BB3_38 Depth=1
	v_mov_b32_e32 v14, 0
	v_mov_b32_e32 v15, 0
.LBB3_67:                               ;   in Loop: Header=BB3_38 Depth=1
	s_mov_b32 s24, 0
	s_cbranch_execnz .LBB3_69
.LBB3_68:                               ;   in Loop: Header=BB3_38 Depth=1
	global_load_dwordx2 v[14:15], v26, s[4:5]
	s_add_i32 s24, s15, -8
	s_add_u32 s4, s4, 8
	s_addc_u32 s5, s5, 0
.LBB3_69:                               ;   in Loop: Header=BB3_38 Depth=1
	s_cmp_gt_u32 s24, 7
	s_cbranch_scc1 .LBB3_73
; %bb.70:                               ;   in Loop: Header=BB3_38 Depth=1
	s_cmp_eq_u32 s24, 0
	s_cbranch_scc1 .LBB3_74
; %bb.71:                               ;   in Loop: Header=BB3_38 Depth=1
	v_mov_b32_e32 v16, 0
	s_mov_b64 s[20:21], 0
	v_mov_b32_e32 v17, 0
	s_mov_b64 s[22:23], 0
.LBB3_72:                               ;   Parent Loop BB3_38 Depth=1
                                        ; =>  This Inner Loop Header: Depth=2
	s_add_u32 s26, s4, s22
	s_addc_u32 s27, s5, s23
	global_load_ubyte v6, v26, s[26:27]
	s_add_u32 s22, s22, 1
	s_addc_u32 s23, s23, 0
	s_waitcnt vmcnt(0)
	v_and_b32_e32 v25, 0xffff, v6
	v_lshlrev_b64 v[6:7], s20, v[25:26]
	s_add_u32 s20, s20, 8
	s_addc_u32 s21, s21, 0
	v_or_b32_e32 v16, v6, v16
	s_cmp_lg_u32 s24, s22
	v_or_b32_e32 v17, v7, v17
	s_cbranch_scc1 .LBB3_72
	s_branch .LBB3_75
.LBB3_73:                               ;   in Loop: Header=BB3_38 Depth=1
                                        ; implicit-def: $sgpr15
	s_branch .LBB3_76
.LBB3_74:                               ;   in Loop: Header=BB3_38 Depth=1
	v_mov_b32_e32 v16, 0
	v_mov_b32_e32 v17, 0
.LBB3_75:                               ;   in Loop: Header=BB3_38 Depth=1
	s_mov_b32 s15, 0
	s_cbranch_execnz .LBB3_77
.LBB3_76:                               ;   in Loop: Header=BB3_38 Depth=1
	global_load_dwordx2 v[16:17], v26, s[4:5]
	s_add_i32 s15, s24, -8
	s_add_u32 s4, s4, 8
	s_addc_u32 s5, s5, 0
.LBB3_77:                               ;   in Loop: Header=BB3_38 Depth=1
	s_cmp_gt_u32 s15, 7
	s_cbranch_scc1 .LBB3_81
; %bb.78:                               ;   in Loop: Header=BB3_38 Depth=1
	s_cmp_eq_u32 s15, 0
	s_cbranch_scc1 .LBB3_82
; %bb.79:                               ;   in Loop: Header=BB3_38 Depth=1
	v_mov_b32_e32 v18, 0
	s_mov_b64 s[20:21], 0
	v_mov_b32_e32 v19, 0
	s_mov_b64 s[22:23], 0
.LBB3_80:                               ;   Parent Loop BB3_38 Depth=1
                                        ; =>  This Inner Loop Header: Depth=2
	s_add_u32 s24, s4, s22
	s_addc_u32 s25, s5, s23
	global_load_ubyte v6, v26, s[24:25]
	s_add_u32 s22, s22, 1
	s_addc_u32 s23, s23, 0
	s_waitcnt vmcnt(0)
	v_and_b32_e32 v25, 0xffff, v6
	v_lshlrev_b64 v[6:7], s20, v[25:26]
	s_add_u32 s20, s20, 8
	s_addc_u32 s21, s21, 0
	v_or_b32_e32 v18, v6, v18
	s_cmp_lg_u32 s15, s22
	v_or_b32_e32 v19, v7, v19
	s_cbranch_scc1 .LBB3_80
	s_branch .LBB3_83
.LBB3_81:                               ;   in Loop: Header=BB3_38 Depth=1
                                        ; implicit-def: $vgpr18_vgpr19
                                        ; implicit-def: $sgpr24
	s_branch .LBB3_84
.LBB3_82:                               ;   in Loop: Header=BB3_38 Depth=1
	v_mov_b32_e32 v18, 0
	v_mov_b32_e32 v19, 0
.LBB3_83:                               ;   in Loop: Header=BB3_38 Depth=1
	s_mov_b32 s24, 0
	s_cbranch_execnz .LBB3_85
.LBB3_84:                               ;   in Loop: Header=BB3_38 Depth=1
	global_load_dwordx2 v[18:19], v26, s[4:5]
	s_add_i32 s24, s15, -8
	s_add_u32 s4, s4, 8
	s_addc_u32 s5, s5, 0
.LBB3_85:                               ;   in Loop: Header=BB3_38 Depth=1
	s_cmp_gt_u32 s24, 7
	s_cbranch_scc1 .LBB3_89
; %bb.86:                               ;   in Loop: Header=BB3_38 Depth=1
	s_cmp_eq_u32 s24, 0
	s_cbranch_scc1 .LBB3_90
; %bb.87:                               ;   in Loop: Header=BB3_38 Depth=1
	v_mov_b32_e32 v20, 0
	s_mov_b64 s[20:21], 0
	v_mov_b32_e32 v21, 0
	s_mov_b64 s[22:23], s[4:5]
.LBB3_88:                               ;   Parent Loop BB3_38 Depth=1
                                        ; =>  This Inner Loop Header: Depth=2
	global_load_ubyte v6, v26, s[22:23]
	s_add_i32 s24, s24, -1
	s_waitcnt vmcnt(0)
	v_and_b32_e32 v25, 0xffff, v6
	v_lshlrev_b64 v[6:7], s20, v[25:26]
	s_add_u32 s20, s20, 8
	s_addc_u32 s21, s21, 0
	s_add_u32 s22, s22, 1
	s_addc_u32 s23, s23, 0
	v_or_b32_e32 v20, v6, v20
	s_cmp_lg_u32 s24, 0
	v_or_b32_e32 v21, v7, v21
	s_cbranch_scc1 .LBB3_88
	s_branch .LBB3_91
.LBB3_89:                               ;   in Loop: Header=BB3_38 Depth=1
	s_branch .LBB3_92
.LBB3_90:                               ;   in Loop: Header=BB3_38 Depth=1
	v_mov_b32_e32 v20, 0
	v_mov_b32_e32 v21, 0
.LBB3_91:                               ;   in Loop: Header=BB3_38 Depth=1
	s_cbranch_execnz .LBB3_93
.LBB3_92:                               ;   in Loop: Header=BB3_38 Depth=1
	global_load_dwordx2 v[20:21], v26, s[4:5]
.LBB3_93:                               ;   in Loop: Header=BB3_38 Depth=1
	v_readfirstlane_b32 s4, v50
	v_mov_b32_e32 v6, 0
	v_mov_b32_e32 v7, 0
	v_cmp_eq_u32_e64 s[4:5], s4, v50
	s_and_saveexec_b64 s[20:21], s[4:5]
	s_cbranch_execz .LBB3_99
; %bb.94:                               ;   in Loop: Header=BB3_38 Depth=1
	global_load_dwordx2 v[24:25], v26, s[36:37] offset:24 glc
	s_waitcnt vmcnt(0)
	buffer_wbinvl1_vol
	global_load_dwordx2 v[6:7], v26, s[36:37] offset:40
	global_load_dwordx2 v[22:23], v26, s[36:37]
	s_waitcnt vmcnt(1)
	v_and_b32_e32 v6, v6, v24
	v_and_b32_e32 v7, v7, v25
	v_mul_lo_u32 v7, v7, 24
	v_mul_hi_u32 v27, v6, 24
	v_mul_lo_u32 v6, v6, 24
	v_add_u32_e32 v7, v27, v7
	s_waitcnt vmcnt(0)
	v_add_co_u32_e32 v6, vcc, v22, v6
	v_addc_co_u32_e32 v7, vcc, v23, v7, vcc
	global_load_dwordx2 v[22:23], v[6:7], off glc
	s_waitcnt vmcnt(0)
	global_atomic_cmpswap_x2 v[6:7], v26, v[22:25], s[36:37] offset:24 glc
	s_waitcnt vmcnt(0)
	buffer_wbinvl1_vol
	v_cmp_ne_u64_e32 vcc, v[6:7], v[24:25]
	s_and_saveexec_b64 s[22:23], vcc
	s_cbranch_execz .LBB3_98
; %bb.95:                               ;   in Loop: Header=BB3_38 Depth=1
	s_mov_b64 s[24:25], 0
.LBB3_96:                               ;   Parent Loop BB3_38 Depth=1
                                        ; =>  This Inner Loop Header: Depth=2
	s_sleep 1
	global_load_dwordx2 v[22:23], v26, s[36:37] offset:40
	global_load_dwordx2 v[27:28], v26, s[36:37]
	v_mov_b32_e32 v25, v7
	v_mov_b32_e32 v24, v6
	s_waitcnt vmcnt(1)
	v_and_b32_e32 v6, v22, v24
	s_waitcnt vmcnt(0)
	v_mad_u64_u32 v[6:7], s[26:27], v6, 24, v[27:28]
	v_and_b32_e32 v22, v23, v25
	v_mad_u64_u32 v[22:23], s[26:27], v22, 24, v[7:8]
	v_mov_b32_e32 v7, v22
	global_load_dwordx2 v[22:23], v[6:7], off glc
	s_waitcnt vmcnt(0)
	global_atomic_cmpswap_x2 v[6:7], v26, v[22:25], s[36:37] offset:24 glc
	s_waitcnt vmcnt(0)
	buffer_wbinvl1_vol
	v_cmp_eq_u64_e32 vcc, v[6:7], v[24:25]
	s_or_b64 s[24:25], vcc, s[24:25]
	s_andn2_b64 exec, exec, s[24:25]
	s_cbranch_execnz .LBB3_96
; %bb.97:                               ;   in Loop: Header=BB3_38 Depth=1
	s_or_b64 exec, exec, s[24:25]
.LBB3_98:                               ;   in Loop: Header=BB3_38 Depth=1
	s_or_b64 exec, exec, s[22:23]
.LBB3_99:                               ;   in Loop: Header=BB3_38 Depth=1
	s_or_b64 exec, exec, s[20:21]
	global_load_dwordx2 v[27:28], v26, s[36:37] offset:40
	global_load_dwordx4 v[22:25], v26, s[36:37]
	v_readfirstlane_b32 s20, v6
	v_readfirstlane_b32 s21, v7
	s_mov_b64 s[22:23], exec
	s_waitcnt vmcnt(1)
	v_readfirstlane_b32 s24, v27
	v_readfirstlane_b32 s25, v28
	s_and_b64 s[24:25], s[20:21], s[24:25]
	s_mul_i32 s15, s25, 24
	s_mul_hi_u32 s26, s24, 24
	s_mul_i32 s27, s24, 24
	s_add_i32 s15, s26, s15
	v_mov_b32_e32 v6, s15
	s_waitcnt vmcnt(0)
	v_add_co_u32_e32 v27, vcc, s27, v22
	v_addc_co_u32_e32 v28, vcc, v23, v6, vcc
	s_and_saveexec_b64 s[26:27], s[4:5]
	s_cbranch_execz .LBB3_101
; %bb.100:                              ;   in Loop: Header=BB3_38 Depth=1
	v_mov_b32_e32 v6, s22
	v_mov_b32_e32 v7, s23
	global_store_dwordx4 v[27:28], v[6:9], off offset:8
.LBB3_101:                              ;   in Loop: Header=BB3_38 Depth=1
	s_or_b64 exec, exec, s[26:27]
	s_lshl_b64 s[22:23], s[24:25], 12
	v_mov_b32_e32 v6, s23
	v_add_co_u32_e32 v24, vcc, s22, v24
	v_addc_co_u32_e32 v30, vcc, v25, v6, vcc
	v_cmp_gt_u64_e64 vcc, s[16:17], 56
	v_or_b32_e32 v7, v0, v29
	s_lshl_b32 s15, s18, 2
	v_cndmask_b32_e32 v0, v7, v0, vcc
	s_add_i32 s15, s15, 28
	v_or_b32_e32 v6, 0, v1
	s_and_b32 s15, s15, 0x1e0
	v_and_b32_e32 v0, 0xffffff1f, v0
	v_cndmask_b32_e32 v1, v6, v1, vcc
	v_or_b32_e32 v0, s15, v0
	v_readfirstlane_b32 s22, v24
	v_readfirstlane_b32 s23, v30
	s_nop 4
	global_store_dwordx4 v39, v[0:3], s[22:23]
	global_store_dwordx4 v39, v[10:13], s[22:23] offset:16
	global_store_dwordx4 v39, v[14:17], s[22:23] offset:32
	;; [unrolled: 1-line block ×3, first 2 shown]
	s_and_saveexec_b64 s[22:23], s[4:5]
	s_cbranch_execz .LBB3_109
; %bb.102:                              ;   in Loop: Header=BB3_38 Depth=1
	global_load_dwordx2 v[12:13], v26, s[36:37] offset:32 glc
	global_load_dwordx2 v[0:1], v26, s[36:37] offset:40
	v_mov_b32_e32 v10, s20
	v_mov_b32_e32 v11, s21
	s_waitcnt vmcnt(0)
	v_readfirstlane_b32 s24, v0
	v_readfirstlane_b32 s25, v1
	s_and_b64 s[24:25], s[24:25], s[20:21]
	s_mul_i32 s15, s25, 24
	s_mul_hi_u32 s25, s24, 24
	s_mul_i32 s24, s24, 24
	s_add_i32 s15, s25, s15
	v_mov_b32_e32 v0, s15
	v_add_co_u32_e32 v6, vcc, s24, v22
	v_addc_co_u32_e32 v7, vcc, v23, v0, vcc
	global_store_dwordx2 v[6:7], v[12:13], off
	s_waitcnt vmcnt(0)
	global_atomic_cmpswap_x2 v[2:3], v26, v[10:13], s[36:37] offset:32 glc
	s_waitcnt vmcnt(0)
	v_cmp_ne_u64_e32 vcc, v[2:3], v[12:13]
	s_and_saveexec_b64 s[24:25], vcc
	s_cbranch_execz .LBB3_105
; %bb.103:                              ;   in Loop: Header=BB3_38 Depth=1
	s_mov_b64 s[26:27], 0
.LBB3_104:                              ;   Parent Loop BB3_38 Depth=1
                                        ; =>  This Inner Loop Header: Depth=2
	s_sleep 1
	global_store_dwordx2 v[6:7], v[2:3], off
	v_mov_b32_e32 v0, s20
	v_mov_b32_e32 v1, s21
	s_waitcnt vmcnt(0)
	global_atomic_cmpswap_x2 v[0:1], v26, v[0:3], s[36:37] offset:32 glc
	s_waitcnt vmcnt(0)
	v_cmp_eq_u64_e32 vcc, v[0:1], v[2:3]
	v_mov_b32_e32 v3, v1
	s_or_b64 s[26:27], vcc, s[26:27]
	v_mov_b32_e32 v2, v0
	s_andn2_b64 exec, exec, s[26:27]
	s_cbranch_execnz .LBB3_104
.LBB3_105:                              ;   in Loop: Header=BB3_38 Depth=1
	s_or_b64 exec, exec, s[24:25]
	global_load_dwordx2 v[0:1], v26, s[36:37] offset:16
	s_mov_b64 s[26:27], exec
	v_mbcnt_lo_u32_b32 v2, s26, 0
	v_mbcnt_hi_u32_b32 v2, s27, v2
	v_cmp_eq_u32_e32 vcc, 0, v2
	s_and_saveexec_b64 s[24:25], vcc
	s_cbranch_execz .LBB3_107
; %bb.106:                              ;   in Loop: Header=BB3_38 Depth=1
	s_bcnt1_i32_b64 s15, s[26:27]
	v_mov_b32_e32 v25, s15
	s_waitcnt vmcnt(0)
	global_atomic_add_x2 v[0:1], v[25:26], off offset:8
.LBB3_107:                              ;   in Loop: Header=BB3_38 Depth=1
	s_or_b64 exec, exec, s[24:25]
	s_waitcnt vmcnt(0)
	global_load_dwordx2 v[2:3], v[0:1], off offset:16
	s_waitcnt vmcnt(0)
	v_cmp_eq_u64_e32 vcc, 0, v[2:3]
	s_cbranch_vccnz .LBB3_109
; %bb.108:                              ;   in Loop: Header=BB3_38 Depth=1
	global_load_dword v25, v[0:1], off offset:24
	s_waitcnt vmcnt(0)
	v_and_b32_e32 v0, 0xffffff, v25
	v_readfirstlane_b32 m0, v0
	global_store_dwordx2 v[2:3], v[25:26], off
	s_sendmsg sendmsg(MSG_INTERRUPT)
.LBB3_109:                              ;   in Loop: Header=BB3_38 Depth=1
	s_or_b64 exec, exec, s[22:23]
	v_add_co_u32_e32 v0, vcc, v24, v39
	v_addc_co_u32_e32 v1, vcc, 0, v30, vcc
	s_branch .LBB3_113
.LBB3_110:                              ;   in Loop: Header=BB3_113 Depth=2
	s_or_b64 exec, exec, s[22:23]
	v_readfirstlane_b32 s15, v2
	s_cmp_eq_u32 s15, 0
	s_cbranch_scc1 .LBB3_112
; %bb.111:                              ;   in Loop: Header=BB3_113 Depth=2
	s_sleep 1
	s_cbranch_execnz .LBB3_113
	s_branch .LBB3_115
.LBB3_112:                              ;   in Loop: Header=BB3_38 Depth=1
	s_branch .LBB3_115
.LBB3_113:                              ;   Parent Loop BB3_38 Depth=1
                                        ; =>  This Inner Loop Header: Depth=2
	v_mov_b32_e32 v2, 1
	s_and_saveexec_b64 s[22:23], s[4:5]
	s_cbranch_execz .LBB3_110
; %bb.114:                              ;   in Loop: Header=BB3_113 Depth=2
	global_load_dword v2, v[27:28], off offset:20 glc
	s_waitcnt vmcnt(0)
	buffer_wbinvl1_vol
	v_and_b32_e32 v2, 1, v2
	s_branch .LBB3_110
.LBB3_115:                              ;   in Loop: Header=BB3_38 Depth=1
	global_load_dwordx4 v[0:3], v[0:1], off
	s_and_saveexec_b64 s[22:23], s[4:5]
	s_cbranch_execz .LBB3_37
; %bb.116:                              ;   in Loop: Header=BB3_38 Depth=1
	global_load_dwordx2 v[2:3], v26, s[36:37] offset:40
	global_load_dwordx2 v[6:7], v26, s[36:37] offset:24 glc
	global_load_dwordx2 v[13:14], v26, s[36:37]
	v_mov_b32_e32 v11, s21
	s_waitcnt vmcnt(2)
	v_add_co_u32_e32 v12, vcc, 1, v2
	v_addc_co_u32_e32 v15, vcc, 0, v3, vcc
	v_add_co_u32_e32 v10, vcc, s20, v12
	v_addc_co_u32_e32 v11, vcc, v15, v11, vcc
	v_cmp_eq_u64_e32 vcc, 0, v[10:11]
	v_cndmask_b32_e32 v11, v11, v15, vcc
	v_cndmask_b32_e32 v10, v10, v12, vcc
	v_and_b32_e32 v3, v11, v3
	v_and_b32_e32 v2, v10, v2
	v_mul_lo_u32 v3, v3, 24
	v_mul_hi_u32 v15, v2, 24
	v_mul_lo_u32 v2, v2, 24
	s_waitcnt vmcnt(1)
	v_mov_b32_e32 v12, v6
	v_add_u32_e32 v3, v15, v3
	s_waitcnt vmcnt(0)
	v_add_co_u32_e32 v2, vcc, v13, v2
	v_addc_co_u32_e32 v3, vcc, v14, v3, vcc
	global_store_dwordx2 v[2:3], v[6:7], off
	v_mov_b32_e32 v13, v7
	s_waitcnt vmcnt(0)
	global_atomic_cmpswap_x2 v[12:13], v26, v[10:13], s[36:37] offset:24 glc
	s_waitcnt vmcnt(0)
	v_cmp_ne_u64_e32 vcc, v[12:13], v[6:7]
	s_and_b64 exec, exec, vcc
	s_cbranch_execz .LBB3_37
; %bb.117:                              ;   in Loop: Header=BB3_38 Depth=1
	s_mov_b64 s[4:5], 0
.LBB3_118:                              ;   Parent Loop BB3_38 Depth=1
                                        ; =>  This Inner Loop Header: Depth=2
	s_sleep 1
	global_store_dwordx2 v[2:3], v[12:13], off
	s_waitcnt vmcnt(0)
	global_atomic_cmpswap_x2 v[6:7], v26, v[10:13], s[36:37] offset:24 glc
	s_waitcnt vmcnt(0)
	v_cmp_eq_u64_e32 vcc, v[6:7], v[12:13]
	v_mov_b32_e32 v13, v7
	s_or_b64 s[4:5], vcc, s[4:5]
	v_mov_b32_e32 v12, v6
	s_andn2_b64 exec, exec, s[4:5]
	s_cbranch_execnz .LBB3_118
	s_branch .LBB3_37
.LBB3_119:
	s_branch .LBB3_147
.LBB3_120:
                                        ; implicit-def: $vgpr0_vgpr1
	s_cbranch_execz .LBB3_147
; %bb.121:
	v_readfirstlane_b32 s4, v50
	v_mov_b32_e32 v7, 0
	v_mov_b32_e32 v8, 0
	v_cmp_eq_u32_e64 s[4:5], s4, v50
	s_and_saveexec_b64 s[10:11], s[4:5]
	s_cbranch_execz .LBB3_127
; %bb.122:
	s_waitcnt vmcnt(0)
	v_mov_b32_e32 v0, 0
	global_load_dwordx2 v[9:10], v0, s[36:37] offset:24 glc
	s_waitcnt vmcnt(0)
	buffer_wbinvl1_vol
	global_load_dwordx2 v[1:2], v0, s[36:37] offset:40
	global_load_dwordx2 v[6:7], v0, s[36:37]
	s_waitcnt vmcnt(1)
	v_and_b32_e32 v1, v1, v9
	v_and_b32_e32 v2, v2, v10
	v_mul_lo_u32 v2, v2, 24
	v_mul_hi_u32 v3, v1, 24
	v_mul_lo_u32 v1, v1, 24
	v_add_u32_e32 v2, v3, v2
	s_waitcnt vmcnt(0)
	v_add_co_u32_e32 v1, vcc, v6, v1
	v_addc_co_u32_e32 v2, vcc, v7, v2, vcc
	global_load_dwordx2 v[7:8], v[1:2], off glc
	s_waitcnt vmcnt(0)
	global_atomic_cmpswap_x2 v[7:8], v0, v[7:10], s[36:37] offset:24 glc
	s_waitcnt vmcnt(0)
	buffer_wbinvl1_vol
	v_cmp_ne_u64_e32 vcc, v[7:8], v[9:10]
	s_and_saveexec_b64 s[16:17], vcc
	s_cbranch_execz .LBB3_126
; %bb.123:
	s_mov_b64 s[18:19], 0
.LBB3_124:                              ; =>This Inner Loop Header: Depth=1
	s_sleep 1
	global_load_dwordx2 v[1:2], v0, s[36:37] offset:40
	global_load_dwordx2 v[11:12], v0, s[36:37]
	v_mov_b32_e32 v10, v8
	v_mov_b32_e32 v9, v7
	s_waitcnt vmcnt(1)
	v_and_b32_e32 v1, v1, v9
	s_waitcnt vmcnt(0)
	v_mad_u64_u32 v[6:7], s[20:21], v1, 24, v[11:12]
	v_and_b32_e32 v2, v2, v10
	v_mov_b32_e32 v1, v7
	v_mad_u64_u32 v[1:2], s[20:21], v2, 24, v[1:2]
	v_mov_b32_e32 v7, v1
	global_load_dwordx2 v[7:8], v[6:7], off glc
	s_waitcnt vmcnt(0)
	global_atomic_cmpswap_x2 v[7:8], v0, v[7:10], s[36:37] offset:24 glc
	s_waitcnt vmcnt(0)
	buffer_wbinvl1_vol
	v_cmp_eq_u64_e32 vcc, v[7:8], v[9:10]
	s_or_b64 s[18:19], vcc, s[18:19]
	s_andn2_b64 exec, exec, s[18:19]
	s_cbranch_execnz .LBB3_124
; %bb.125:
	s_or_b64 exec, exec, s[18:19]
.LBB3_126:
	s_or_b64 exec, exec, s[16:17]
.LBB3_127:
	s_or_b64 exec, exec, s[10:11]
	v_mov_b32_e32 v6, 0
	global_load_dwordx2 v[9:10], v6, s[36:37] offset:40
	global_load_dwordx4 v[0:3], v6, s[36:37]
	v_readfirstlane_b32 s10, v7
	v_readfirstlane_b32 s11, v8
	s_mov_b64 s[16:17], exec
	s_waitcnt vmcnt(1)
	v_readfirstlane_b32 s18, v9
	v_readfirstlane_b32 s19, v10
	s_and_b64 s[18:19], s[10:11], s[18:19]
	s_mul_i32 s15, s19, 24
	s_mul_hi_u32 s20, s18, 24
	s_mul_i32 s21, s18, 24
	s_add_i32 s15, s20, s15
	v_mov_b32_e32 v7, s15
	s_waitcnt vmcnt(0)
	v_add_co_u32_e32 v8, vcc, s21, v0
	v_addc_co_u32_e32 v9, vcc, v1, v7, vcc
	s_and_saveexec_b64 s[20:21], s[4:5]
	s_cbranch_execz .LBB3_129
; %bb.128:
	v_mov_b32_e32 v10, s16
	v_mov_b32_e32 v11, s17
	;; [unrolled: 1-line block ×4, first 2 shown]
	global_store_dwordx4 v[8:9], v[10:13], off offset:8
.LBB3_129:
	s_or_b64 exec, exec, s[20:21]
	s_lshl_b64 s[16:17], s[18:19], 12
	v_mov_b32_e32 v7, s17
	v_add_co_u32_e32 v2, vcc, s16, v2
	v_addc_co_u32_e32 v3, vcc, v3, v7, vcc
	s_movk_i32 s15, 0xff1f
	v_and_or_b32 v4, v4, s15, 32
	v_add_co_u32_e32 v10, vcc, v2, v39
	s_mov_b32 s16, 0
	v_mov_b32_e32 v7, v6
	v_readfirstlane_b32 s20, v2
	v_readfirstlane_b32 s21, v3
	v_addc_co_u32_e32 v11, vcc, 0, v3, vcc
	s_mov_b32 s17, s16
	s_mov_b32 s18, s16
	;; [unrolled: 1-line block ×3, first 2 shown]
	s_nop 0
	global_store_dwordx4 v39, v[4:7], s[20:21]
	v_mov_b32_e32 v2, s16
	v_mov_b32_e32 v3, s17
	;; [unrolled: 1-line block ×4, first 2 shown]
	global_store_dwordx4 v39, v[2:5], s[20:21] offset:16
	global_store_dwordx4 v39, v[2:5], s[20:21] offset:32
	;; [unrolled: 1-line block ×3, first 2 shown]
	s_and_saveexec_b64 s[16:17], s[4:5]
	s_cbranch_execz .LBB3_137
; %bb.130:
	v_mov_b32_e32 v6, 0
	global_load_dwordx2 v[14:15], v6, s[36:37] offset:32 glc
	global_load_dwordx2 v[2:3], v6, s[36:37] offset:40
	v_mov_b32_e32 v12, s10
	v_mov_b32_e32 v13, s11
	s_waitcnt vmcnt(0)
	v_readfirstlane_b32 s18, v2
	v_readfirstlane_b32 s19, v3
	s_and_b64 s[18:19], s[18:19], s[10:11]
	s_mul_i32 s15, s19, 24
	s_mul_hi_u32 s19, s18, 24
	s_mul_i32 s18, s18, 24
	s_add_i32 s15, s19, s15
	v_mov_b32_e32 v2, s15
	v_add_co_u32_e32 v4, vcc, s18, v0
	v_addc_co_u32_e32 v5, vcc, v1, v2, vcc
	global_store_dwordx2 v[4:5], v[14:15], off
	s_waitcnt vmcnt(0)
	global_atomic_cmpswap_x2 v[2:3], v6, v[12:15], s[36:37] offset:32 glc
	s_waitcnt vmcnt(0)
	v_cmp_ne_u64_e32 vcc, v[2:3], v[14:15]
	s_and_saveexec_b64 s[18:19], vcc
	s_cbranch_execz .LBB3_133
; %bb.131:
	s_mov_b64 s[20:21], 0
.LBB3_132:                              ; =>This Inner Loop Header: Depth=1
	s_sleep 1
	global_store_dwordx2 v[4:5], v[2:3], off
	v_mov_b32_e32 v0, s10
	v_mov_b32_e32 v1, s11
	s_waitcnt vmcnt(0)
	global_atomic_cmpswap_x2 v[0:1], v6, v[0:3], s[36:37] offset:32 glc
	s_waitcnt vmcnt(0)
	v_cmp_eq_u64_e32 vcc, v[0:1], v[2:3]
	v_mov_b32_e32 v3, v1
	s_or_b64 s[20:21], vcc, s[20:21]
	v_mov_b32_e32 v2, v0
	s_andn2_b64 exec, exec, s[20:21]
	s_cbranch_execnz .LBB3_132
.LBB3_133:
	s_or_b64 exec, exec, s[18:19]
	v_mov_b32_e32 v3, 0
	global_load_dwordx2 v[0:1], v3, s[36:37] offset:16
	s_mov_b64 s[18:19], exec
	v_mbcnt_lo_u32_b32 v2, s18, 0
	v_mbcnt_hi_u32_b32 v2, s19, v2
	v_cmp_eq_u32_e32 vcc, 0, v2
	s_and_saveexec_b64 s[20:21], vcc
	s_cbranch_execz .LBB3_135
; %bb.134:
	s_bcnt1_i32_b64 s15, s[18:19]
	v_mov_b32_e32 v2, s15
	s_waitcnt vmcnt(0)
	global_atomic_add_x2 v[0:1], v[2:3], off offset:8
.LBB3_135:
	s_or_b64 exec, exec, s[20:21]
	s_waitcnt vmcnt(0)
	global_load_dwordx2 v[2:3], v[0:1], off offset:16
	s_waitcnt vmcnt(0)
	v_cmp_eq_u64_e32 vcc, 0, v[2:3]
	s_cbranch_vccnz .LBB3_137
; %bb.136:
	global_load_dword v0, v[0:1], off offset:24
	v_mov_b32_e32 v1, 0
	s_waitcnt vmcnt(0)
	global_store_dwordx2 v[2:3], v[0:1], off
	v_and_b32_e32 v0, 0xffffff, v0
	v_readfirstlane_b32 m0, v0
	s_sendmsg sendmsg(MSG_INTERRUPT)
.LBB3_137:
	s_or_b64 exec, exec, s[16:17]
	s_branch .LBB3_141
.LBB3_138:                              ;   in Loop: Header=BB3_141 Depth=1
	s_or_b64 exec, exec, s[16:17]
	v_readfirstlane_b32 s15, v0
	s_cmp_eq_u32 s15, 0
	s_cbranch_scc1 .LBB3_140
; %bb.139:                              ;   in Loop: Header=BB3_141 Depth=1
	s_sleep 1
	s_cbranch_execnz .LBB3_141
	s_branch .LBB3_143
.LBB3_140:
	s_branch .LBB3_143
.LBB3_141:                              ; =>This Inner Loop Header: Depth=1
	v_mov_b32_e32 v0, 1
	s_and_saveexec_b64 s[16:17], s[4:5]
	s_cbranch_execz .LBB3_138
; %bb.142:                              ;   in Loop: Header=BB3_141 Depth=1
	global_load_dword v0, v[8:9], off offset:20 glc
	s_waitcnt vmcnt(0)
	buffer_wbinvl1_vol
	v_and_b32_e32 v0, 1, v0
	s_branch .LBB3_138
.LBB3_143:
	global_load_dwordx2 v[0:1], v[10:11], off
	s_and_saveexec_b64 s[16:17], s[4:5]
	s_cbranch_execz .LBB3_146
; %bb.144:
	v_mov_b32_e32 v8, 0
	global_load_dwordx2 v[4:5], v8, s[36:37] offset:40
	global_load_dwordx2 v[9:10], v8, s[36:37] offset:24 glc
	global_load_dwordx2 v[6:7], v8, s[36:37]
	v_mov_b32_e32 v3, s11
	s_mov_b64 s[4:5], 0
	s_waitcnt vmcnt(2)
	v_add_co_u32_e32 v11, vcc, 1, v4
	v_addc_co_u32_e32 v12, vcc, 0, v5, vcc
	v_add_co_u32_e32 v2, vcc, s10, v11
	v_addc_co_u32_e32 v3, vcc, v12, v3, vcc
	v_cmp_eq_u64_e32 vcc, 0, v[2:3]
	v_cndmask_b32_e32 v3, v3, v12, vcc
	v_cndmask_b32_e32 v2, v2, v11, vcc
	v_and_b32_e32 v5, v3, v5
	v_and_b32_e32 v4, v2, v4
	v_mul_lo_u32 v5, v5, 24
	v_mul_hi_u32 v11, v4, 24
	v_mul_lo_u32 v12, v4, 24
	s_waitcnt vmcnt(1)
	v_mov_b32_e32 v4, v9
	v_add_u32_e32 v5, v11, v5
	s_waitcnt vmcnt(0)
	v_add_co_u32_e32 v6, vcc, v6, v12
	v_addc_co_u32_e32 v7, vcc, v7, v5, vcc
	global_store_dwordx2 v[6:7], v[9:10], off
	v_mov_b32_e32 v5, v10
	s_waitcnt vmcnt(0)
	global_atomic_cmpswap_x2 v[4:5], v8, v[2:5], s[36:37] offset:24 glc
	s_waitcnt vmcnt(0)
	v_cmp_ne_u64_e32 vcc, v[4:5], v[9:10]
	s_and_b64 exec, exec, vcc
	s_cbranch_execz .LBB3_146
.LBB3_145:                              ; =>This Inner Loop Header: Depth=1
	s_sleep 1
	global_store_dwordx2 v[6:7], v[4:5], off
	s_waitcnt vmcnt(0)
	global_atomic_cmpswap_x2 v[9:10], v8, v[2:5], s[36:37] offset:24 glc
	s_waitcnt vmcnt(0)
	v_cmp_eq_u64_e32 vcc, v[9:10], v[4:5]
	v_mov_b32_e32 v4, v9
	s_or_b64 s[4:5], vcc, s[4:5]
	v_mov_b32_e32 v5, v10
	s_andn2_b64 exec, exec, s[4:5]
	s_cbranch_execnz .LBB3_145
.LBB3_146:
	s_or_b64 exec, exec, s[16:17]
.LBB3_147:
	s_getpc_b64 s[10:11]
	s_add_u32 s10, s10, __PRETTY_FUNCTION__._ZL37search_pattern_appears_multiple_timesRN8migraphx4test12test_managerE@rel32@lo+4
	s_addc_u32 s11, s11, __PRETTY_FUNCTION__._ZL37search_pattern_appears_multiple_timesRN8migraphx4test12test_managerE@rel32@hi+12
	s_cmp_lg_u64 s[10:11], 0
	s_cbranch_scc0 .LBB3_232
; %bb.148:
	s_waitcnt vmcnt(0)
	v_and_b32_e32 v6, -3, v0
	v_mov_b32_e32 v7, v1
	s_mov_b64 s[16:17], 0x4b
	v_mov_b32_e32 v26, 0
	v_mov_b32_e32 v4, 2
	;; [unrolled: 1-line block ×3, first 2 shown]
	s_branch .LBB3_150
.LBB3_149:                              ;   in Loop: Header=BB3_150 Depth=1
	s_or_b64 exec, exec, s[22:23]
	s_sub_u32 s16, s16, s18
	s_subb_u32 s17, s17, s19
	s_add_u32 s10, s10, s18
	s_addc_u32 s11, s11, s19
	s_cmp_lg_u64 s[16:17], 0
	s_cbranch_scc0 .LBB3_231
.LBB3_150:                              ; =>This Loop Header: Depth=1
                                        ;     Child Loop BB3_153 Depth 2
                                        ;     Child Loop BB3_160 Depth 2
                                        ;     Child Loop BB3_168 Depth 2
                                        ;     Child Loop BB3_176 Depth 2
                                        ;     Child Loop BB3_184 Depth 2
                                        ;     Child Loop BB3_192 Depth 2
                                        ;     Child Loop BB3_200 Depth 2
                                        ;     Child Loop BB3_208 Depth 2
                                        ;     Child Loop BB3_216 Depth 2
                                        ;     Child Loop BB3_225 Depth 2
                                        ;     Child Loop BB3_230 Depth 2
	v_cmp_lt_u64_e64 s[4:5], s[16:17], 56
	v_cmp_gt_u64_e64 s[20:21], s[16:17], 7
	s_and_b64 s[4:5], s[4:5], exec
	s_cselect_b32 s19, s17, 0
	s_cselect_b32 s18, s16, 56
	s_and_b64 vcc, exec, s[20:21]
	s_cbranch_vccnz .LBB3_155
; %bb.151:                              ;   in Loop: Header=BB3_150 Depth=1
	s_waitcnt vmcnt(0)
	v_mov_b32_e32 v8, 0
	s_cmp_eq_u64 s[16:17], 0
	v_mov_b32_e32 v9, 0
	s_mov_b64 s[4:5], 0
	s_cbranch_scc1 .LBB3_154
; %bb.152:                              ;   in Loop: Header=BB3_150 Depth=1
	v_mov_b32_e32 v8, 0
	s_lshl_b64 s[20:21], s[18:19], 3
	s_mov_b64 s[22:23], 0
	v_mov_b32_e32 v9, 0
	s_mov_b64 s[24:25], s[10:11]
.LBB3_153:                              ;   Parent Loop BB3_150 Depth=1
                                        ; =>  This Inner Loop Header: Depth=2
	global_load_ubyte v2, v26, s[24:25]
	s_waitcnt vmcnt(0)
	v_and_b32_e32 v25, 0xffff, v2
	v_lshlrev_b64 v[2:3], s22, v[25:26]
	s_add_u32 s22, s22, 8
	s_addc_u32 s23, s23, 0
	s_add_u32 s24, s24, 1
	s_addc_u32 s25, s25, 0
	v_or_b32_e32 v8, v2, v8
	s_cmp_lg_u32 s20, s22
	v_or_b32_e32 v9, v3, v9
	s_cbranch_scc1 .LBB3_153
.LBB3_154:                              ;   in Loop: Header=BB3_150 Depth=1
	s_mov_b32 s15, 0
	s_andn2_b64 vcc, exec, s[4:5]
	s_mov_b64 s[4:5], s[10:11]
	s_cbranch_vccz .LBB3_156
	s_branch .LBB3_157
.LBB3_155:                              ;   in Loop: Header=BB3_150 Depth=1
                                        ; implicit-def: $sgpr15
	s_mov_b64 s[4:5], s[10:11]
.LBB3_156:                              ;   in Loop: Header=BB3_150 Depth=1
	global_load_dwordx2 v[8:9], v26, s[10:11]
	s_add_i32 s15, s18, -8
	s_add_u32 s4, s10, 8
	s_addc_u32 s5, s11, 0
.LBB3_157:                              ;   in Loop: Header=BB3_150 Depth=1
	s_cmp_gt_u32 s15, 7
	s_cbranch_scc1 .LBB3_161
; %bb.158:                              ;   in Loop: Header=BB3_150 Depth=1
	s_cmp_eq_u32 s15, 0
	s_cbranch_scc1 .LBB3_162
; %bb.159:                              ;   in Loop: Header=BB3_150 Depth=1
	v_mov_b32_e32 v10, 0
	s_mov_b64 s[20:21], 0
	v_mov_b32_e32 v11, 0
	s_mov_b64 s[22:23], 0
.LBB3_160:                              ;   Parent Loop BB3_150 Depth=1
                                        ; =>  This Inner Loop Header: Depth=2
	s_add_u32 s24, s4, s22
	s_addc_u32 s25, s5, s23
	global_load_ubyte v2, v26, s[24:25]
	s_add_u32 s22, s22, 1
	s_addc_u32 s23, s23, 0
	s_waitcnt vmcnt(0)
	v_and_b32_e32 v25, 0xffff, v2
	v_lshlrev_b64 v[2:3], s20, v[25:26]
	s_add_u32 s20, s20, 8
	s_addc_u32 s21, s21, 0
	v_or_b32_e32 v10, v2, v10
	s_cmp_lg_u32 s15, s22
	v_or_b32_e32 v11, v3, v11
	s_cbranch_scc1 .LBB3_160
	s_branch .LBB3_163
.LBB3_161:                              ;   in Loop: Header=BB3_150 Depth=1
                                        ; implicit-def: $vgpr10_vgpr11
                                        ; implicit-def: $sgpr24
	s_branch .LBB3_164
.LBB3_162:                              ;   in Loop: Header=BB3_150 Depth=1
	v_mov_b32_e32 v10, 0
	v_mov_b32_e32 v11, 0
.LBB3_163:                              ;   in Loop: Header=BB3_150 Depth=1
	s_mov_b32 s24, 0
	s_cbranch_execnz .LBB3_165
.LBB3_164:                              ;   in Loop: Header=BB3_150 Depth=1
	global_load_dwordx2 v[10:11], v26, s[4:5]
	s_add_i32 s24, s15, -8
	s_add_u32 s4, s4, 8
	s_addc_u32 s5, s5, 0
.LBB3_165:                              ;   in Loop: Header=BB3_150 Depth=1
	s_cmp_gt_u32 s24, 7
	s_cbranch_scc1 .LBB3_169
; %bb.166:                              ;   in Loop: Header=BB3_150 Depth=1
	s_cmp_eq_u32 s24, 0
	s_cbranch_scc1 .LBB3_170
; %bb.167:                              ;   in Loop: Header=BB3_150 Depth=1
	v_mov_b32_e32 v12, 0
	s_mov_b64 s[20:21], 0
	v_mov_b32_e32 v13, 0
	s_mov_b64 s[22:23], 0
.LBB3_168:                              ;   Parent Loop BB3_150 Depth=1
                                        ; =>  This Inner Loop Header: Depth=2
	s_add_u32 s26, s4, s22
	s_addc_u32 s27, s5, s23
	global_load_ubyte v2, v26, s[26:27]
	s_add_u32 s22, s22, 1
	s_addc_u32 s23, s23, 0
	s_waitcnt vmcnt(0)
	v_and_b32_e32 v25, 0xffff, v2
	v_lshlrev_b64 v[2:3], s20, v[25:26]
	s_add_u32 s20, s20, 8
	s_addc_u32 s21, s21, 0
	v_or_b32_e32 v12, v2, v12
	s_cmp_lg_u32 s24, s22
	v_or_b32_e32 v13, v3, v13
	s_cbranch_scc1 .LBB3_168
	s_branch .LBB3_171
.LBB3_169:                              ;   in Loop: Header=BB3_150 Depth=1
                                        ; implicit-def: $sgpr15
	s_branch .LBB3_172
.LBB3_170:                              ;   in Loop: Header=BB3_150 Depth=1
	v_mov_b32_e32 v12, 0
	v_mov_b32_e32 v13, 0
.LBB3_171:                              ;   in Loop: Header=BB3_150 Depth=1
	s_mov_b32 s15, 0
	s_cbranch_execnz .LBB3_173
.LBB3_172:                              ;   in Loop: Header=BB3_150 Depth=1
	global_load_dwordx2 v[12:13], v26, s[4:5]
	s_add_i32 s15, s24, -8
	s_add_u32 s4, s4, 8
	s_addc_u32 s5, s5, 0
.LBB3_173:                              ;   in Loop: Header=BB3_150 Depth=1
	s_cmp_gt_u32 s15, 7
	s_cbranch_scc1 .LBB3_177
; %bb.174:                              ;   in Loop: Header=BB3_150 Depth=1
	s_cmp_eq_u32 s15, 0
	s_cbranch_scc1 .LBB3_178
; %bb.175:                              ;   in Loop: Header=BB3_150 Depth=1
	v_mov_b32_e32 v14, 0
	s_mov_b64 s[20:21], 0
	v_mov_b32_e32 v15, 0
	s_mov_b64 s[22:23], 0
.LBB3_176:                              ;   Parent Loop BB3_150 Depth=1
                                        ; =>  This Inner Loop Header: Depth=2
	s_add_u32 s24, s4, s22
	s_addc_u32 s25, s5, s23
	global_load_ubyte v2, v26, s[24:25]
	s_add_u32 s22, s22, 1
	s_addc_u32 s23, s23, 0
	s_waitcnt vmcnt(0)
	v_and_b32_e32 v25, 0xffff, v2
	v_lshlrev_b64 v[2:3], s20, v[25:26]
	s_add_u32 s20, s20, 8
	s_addc_u32 s21, s21, 0
	v_or_b32_e32 v14, v2, v14
	s_cmp_lg_u32 s15, s22
	v_or_b32_e32 v15, v3, v15
	s_cbranch_scc1 .LBB3_176
	s_branch .LBB3_179
.LBB3_177:                              ;   in Loop: Header=BB3_150 Depth=1
                                        ; implicit-def: $vgpr14_vgpr15
                                        ; implicit-def: $sgpr24
	s_branch .LBB3_180
.LBB3_178:                              ;   in Loop: Header=BB3_150 Depth=1
	v_mov_b32_e32 v14, 0
	v_mov_b32_e32 v15, 0
.LBB3_179:                              ;   in Loop: Header=BB3_150 Depth=1
	s_mov_b32 s24, 0
	s_cbranch_execnz .LBB3_181
.LBB3_180:                              ;   in Loop: Header=BB3_150 Depth=1
	global_load_dwordx2 v[14:15], v26, s[4:5]
	s_add_i32 s24, s15, -8
	s_add_u32 s4, s4, 8
	s_addc_u32 s5, s5, 0
.LBB3_181:                              ;   in Loop: Header=BB3_150 Depth=1
	s_cmp_gt_u32 s24, 7
	s_cbranch_scc1 .LBB3_185
; %bb.182:                              ;   in Loop: Header=BB3_150 Depth=1
	s_cmp_eq_u32 s24, 0
	s_cbranch_scc1 .LBB3_186
; %bb.183:                              ;   in Loop: Header=BB3_150 Depth=1
	v_mov_b32_e32 v16, 0
	s_mov_b64 s[20:21], 0
	v_mov_b32_e32 v17, 0
	s_mov_b64 s[22:23], 0
.LBB3_184:                              ;   Parent Loop BB3_150 Depth=1
                                        ; =>  This Inner Loop Header: Depth=2
	s_add_u32 s26, s4, s22
	s_addc_u32 s27, s5, s23
	global_load_ubyte v2, v26, s[26:27]
	s_add_u32 s22, s22, 1
	s_addc_u32 s23, s23, 0
	s_waitcnt vmcnt(0)
	v_and_b32_e32 v25, 0xffff, v2
	v_lshlrev_b64 v[2:3], s20, v[25:26]
	s_add_u32 s20, s20, 8
	s_addc_u32 s21, s21, 0
	v_or_b32_e32 v16, v2, v16
	s_cmp_lg_u32 s24, s22
	v_or_b32_e32 v17, v3, v17
	s_cbranch_scc1 .LBB3_184
	s_branch .LBB3_187
.LBB3_185:                              ;   in Loop: Header=BB3_150 Depth=1
                                        ; implicit-def: $sgpr15
	s_branch .LBB3_188
.LBB3_186:                              ;   in Loop: Header=BB3_150 Depth=1
	v_mov_b32_e32 v16, 0
	v_mov_b32_e32 v17, 0
.LBB3_187:                              ;   in Loop: Header=BB3_150 Depth=1
	s_mov_b32 s15, 0
	s_cbranch_execnz .LBB3_189
.LBB3_188:                              ;   in Loop: Header=BB3_150 Depth=1
	global_load_dwordx2 v[16:17], v26, s[4:5]
	s_add_i32 s15, s24, -8
	s_add_u32 s4, s4, 8
	s_addc_u32 s5, s5, 0
.LBB3_189:                              ;   in Loop: Header=BB3_150 Depth=1
	s_cmp_gt_u32 s15, 7
	s_cbranch_scc1 .LBB3_193
; %bb.190:                              ;   in Loop: Header=BB3_150 Depth=1
	s_cmp_eq_u32 s15, 0
	s_cbranch_scc1 .LBB3_194
; %bb.191:                              ;   in Loop: Header=BB3_150 Depth=1
	v_mov_b32_e32 v18, 0
	s_mov_b64 s[20:21], 0
	v_mov_b32_e32 v19, 0
	s_mov_b64 s[22:23], 0
.LBB3_192:                              ;   Parent Loop BB3_150 Depth=1
                                        ; =>  This Inner Loop Header: Depth=2
	s_add_u32 s24, s4, s22
	s_addc_u32 s25, s5, s23
	global_load_ubyte v2, v26, s[24:25]
	s_add_u32 s22, s22, 1
	s_addc_u32 s23, s23, 0
	s_waitcnt vmcnt(0)
	v_and_b32_e32 v25, 0xffff, v2
	v_lshlrev_b64 v[2:3], s20, v[25:26]
	s_add_u32 s20, s20, 8
	s_addc_u32 s21, s21, 0
	v_or_b32_e32 v18, v2, v18
	s_cmp_lg_u32 s15, s22
	v_or_b32_e32 v19, v3, v19
	s_cbranch_scc1 .LBB3_192
	s_branch .LBB3_195
.LBB3_193:                              ;   in Loop: Header=BB3_150 Depth=1
                                        ; implicit-def: $vgpr18_vgpr19
                                        ; implicit-def: $sgpr24
	s_branch .LBB3_196
.LBB3_194:                              ;   in Loop: Header=BB3_150 Depth=1
	v_mov_b32_e32 v18, 0
	v_mov_b32_e32 v19, 0
.LBB3_195:                              ;   in Loop: Header=BB3_150 Depth=1
	s_mov_b32 s24, 0
	s_cbranch_execnz .LBB3_197
.LBB3_196:                              ;   in Loop: Header=BB3_150 Depth=1
	global_load_dwordx2 v[18:19], v26, s[4:5]
	s_add_i32 s24, s15, -8
	s_add_u32 s4, s4, 8
	s_addc_u32 s5, s5, 0
.LBB3_197:                              ;   in Loop: Header=BB3_150 Depth=1
	s_cmp_gt_u32 s24, 7
	s_cbranch_scc1 .LBB3_201
; %bb.198:                              ;   in Loop: Header=BB3_150 Depth=1
	s_cmp_eq_u32 s24, 0
	s_cbranch_scc1 .LBB3_202
; %bb.199:                              ;   in Loop: Header=BB3_150 Depth=1
	v_mov_b32_e32 v20, 0
	s_mov_b64 s[20:21], 0
	v_mov_b32_e32 v21, 0
	s_mov_b64 s[22:23], s[4:5]
.LBB3_200:                              ;   Parent Loop BB3_150 Depth=1
                                        ; =>  This Inner Loop Header: Depth=2
	global_load_ubyte v2, v26, s[22:23]
	s_add_i32 s24, s24, -1
	s_waitcnt vmcnt(0)
	v_and_b32_e32 v25, 0xffff, v2
	v_lshlrev_b64 v[2:3], s20, v[25:26]
	s_add_u32 s20, s20, 8
	s_addc_u32 s21, s21, 0
	s_add_u32 s22, s22, 1
	s_addc_u32 s23, s23, 0
	v_or_b32_e32 v20, v2, v20
	s_cmp_lg_u32 s24, 0
	v_or_b32_e32 v21, v3, v21
	s_cbranch_scc1 .LBB3_200
	s_branch .LBB3_203
.LBB3_201:                              ;   in Loop: Header=BB3_150 Depth=1
	s_branch .LBB3_204
.LBB3_202:                              ;   in Loop: Header=BB3_150 Depth=1
	v_mov_b32_e32 v20, 0
	v_mov_b32_e32 v21, 0
.LBB3_203:                              ;   in Loop: Header=BB3_150 Depth=1
	s_cbranch_execnz .LBB3_205
.LBB3_204:                              ;   in Loop: Header=BB3_150 Depth=1
	global_load_dwordx2 v[20:21], v26, s[4:5]
.LBB3_205:                              ;   in Loop: Header=BB3_150 Depth=1
	v_readfirstlane_b32 s4, v50
	v_mov_b32_e32 v2, 0
	v_mov_b32_e32 v3, 0
	v_cmp_eq_u32_e64 s[4:5], s4, v50
	s_and_saveexec_b64 s[20:21], s[4:5]
	s_cbranch_execz .LBB3_211
; %bb.206:                              ;   in Loop: Header=BB3_150 Depth=1
	global_load_dwordx2 v[24:25], v26, s[36:37] offset:24 glc
	s_waitcnt vmcnt(0)
	buffer_wbinvl1_vol
	global_load_dwordx2 v[2:3], v26, s[36:37] offset:40
	global_load_dwordx2 v[22:23], v26, s[36:37]
	s_waitcnt vmcnt(1)
	v_and_b32_e32 v2, v2, v24
	v_and_b32_e32 v3, v3, v25
	v_mul_lo_u32 v3, v3, 24
	v_mul_hi_u32 v27, v2, 24
	v_mul_lo_u32 v2, v2, 24
	v_add_u32_e32 v3, v27, v3
	s_waitcnt vmcnt(0)
	v_add_co_u32_e32 v2, vcc, v22, v2
	v_addc_co_u32_e32 v3, vcc, v23, v3, vcc
	global_load_dwordx2 v[22:23], v[2:3], off glc
	s_waitcnt vmcnt(0)
	global_atomic_cmpswap_x2 v[2:3], v26, v[22:25], s[36:37] offset:24 glc
	s_waitcnt vmcnt(0)
	buffer_wbinvl1_vol
	v_cmp_ne_u64_e32 vcc, v[2:3], v[24:25]
	s_and_saveexec_b64 s[22:23], vcc
	s_cbranch_execz .LBB3_210
; %bb.207:                              ;   in Loop: Header=BB3_150 Depth=1
	s_mov_b64 s[24:25], 0
.LBB3_208:                              ;   Parent Loop BB3_150 Depth=1
                                        ; =>  This Inner Loop Header: Depth=2
	s_sleep 1
	global_load_dwordx2 v[22:23], v26, s[36:37] offset:40
	global_load_dwordx2 v[27:28], v26, s[36:37]
	v_mov_b32_e32 v25, v3
	v_mov_b32_e32 v24, v2
	s_waitcnt vmcnt(1)
	v_and_b32_e32 v2, v22, v24
	s_waitcnt vmcnt(0)
	v_mad_u64_u32 v[2:3], s[26:27], v2, 24, v[27:28]
	v_and_b32_e32 v22, v23, v25
	v_mad_u64_u32 v[22:23], s[26:27], v22, 24, v[3:4]
	v_mov_b32_e32 v3, v22
	global_load_dwordx2 v[22:23], v[2:3], off glc
	s_waitcnt vmcnt(0)
	global_atomic_cmpswap_x2 v[2:3], v26, v[22:25], s[36:37] offset:24 glc
	s_waitcnt vmcnt(0)
	buffer_wbinvl1_vol
	v_cmp_eq_u64_e32 vcc, v[2:3], v[24:25]
	s_or_b64 s[24:25], vcc, s[24:25]
	s_andn2_b64 exec, exec, s[24:25]
	s_cbranch_execnz .LBB3_208
; %bb.209:                              ;   in Loop: Header=BB3_150 Depth=1
	s_or_b64 exec, exec, s[24:25]
.LBB3_210:                              ;   in Loop: Header=BB3_150 Depth=1
	s_or_b64 exec, exec, s[22:23]
.LBB3_211:                              ;   in Loop: Header=BB3_150 Depth=1
	s_or_b64 exec, exec, s[20:21]
	global_load_dwordx2 v[27:28], v26, s[36:37] offset:40
	global_load_dwordx4 v[22:25], v26, s[36:37]
	v_readfirstlane_b32 s20, v2
	v_readfirstlane_b32 s21, v3
	s_mov_b64 s[22:23], exec
	s_waitcnt vmcnt(1)
	v_readfirstlane_b32 s24, v27
	v_readfirstlane_b32 s25, v28
	s_and_b64 s[24:25], s[20:21], s[24:25]
	s_mul_i32 s15, s25, 24
	s_mul_hi_u32 s26, s24, 24
	s_mul_i32 s27, s24, 24
	s_add_i32 s15, s26, s15
	v_mov_b32_e32 v2, s15
	s_waitcnt vmcnt(0)
	v_add_co_u32_e32 v27, vcc, s27, v22
	v_addc_co_u32_e32 v28, vcc, v23, v2, vcc
	s_and_saveexec_b64 s[26:27], s[4:5]
	s_cbranch_execz .LBB3_213
; %bb.212:                              ;   in Loop: Header=BB3_150 Depth=1
	v_mov_b32_e32 v2, s22
	v_mov_b32_e32 v3, s23
	global_store_dwordx4 v[27:28], v[2:5], off offset:8
.LBB3_213:                              ;   in Loop: Header=BB3_150 Depth=1
	s_or_b64 exec, exec, s[26:27]
	s_lshl_b64 s[22:23], s[24:25], 12
	v_mov_b32_e32 v2, s23
	v_add_co_u32_e32 v24, vcc, s22, v24
	v_addc_co_u32_e32 v29, vcc, v25, v2, vcc
	v_cmp_gt_u64_e64 vcc, s[16:17], 56
	v_or_b32_e32 v2, 2, v6
	s_lshl_b32 s15, s18, 2
	v_cndmask_b32_e32 v2, v2, v6, vcc
	s_add_i32 s15, s15, 28
	s_and_b32 s15, s15, 0x1e0
	v_and_b32_e32 v2, 0xffffff1f, v2
	v_or_b32_e32 v6, s15, v2
	v_readfirstlane_b32 s22, v24
	v_readfirstlane_b32 s23, v29
	s_nop 4
	global_store_dwordx4 v39, v[6:9], s[22:23]
	global_store_dwordx4 v39, v[10:13], s[22:23] offset:16
	global_store_dwordx4 v39, v[14:17], s[22:23] offset:32
	;; [unrolled: 1-line block ×3, first 2 shown]
	s_and_saveexec_b64 s[22:23], s[4:5]
	s_cbranch_execz .LBB3_221
; %bb.214:                              ;   in Loop: Header=BB3_150 Depth=1
	global_load_dwordx2 v[10:11], v26, s[36:37] offset:32 glc
	global_load_dwordx2 v[2:3], v26, s[36:37] offset:40
	v_mov_b32_e32 v8, s20
	v_mov_b32_e32 v9, s21
	s_waitcnt vmcnt(0)
	v_readfirstlane_b32 s24, v2
	v_readfirstlane_b32 s25, v3
	s_and_b64 s[24:25], s[24:25], s[20:21]
	s_mul_i32 s15, s25, 24
	s_mul_hi_u32 s25, s24, 24
	s_mul_i32 s24, s24, 24
	s_add_i32 s15, s25, s15
	v_mov_b32_e32 v3, s15
	v_add_co_u32_e32 v2, vcc, s24, v22
	v_addc_co_u32_e32 v3, vcc, v23, v3, vcc
	global_store_dwordx2 v[2:3], v[10:11], off
	s_waitcnt vmcnt(0)
	global_atomic_cmpswap_x2 v[8:9], v26, v[8:11], s[36:37] offset:32 glc
	s_waitcnt vmcnt(0)
	v_cmp_ne_u64_e32 vcc, v[8:9], v[10:11]
	s_and_saveexec_b64 s[24:25], vcc
	s_cbranch_execz .LBB3_217
; %bb.215:                              ;   in Loop: Header=BB3_150 Depth=1
	s_mov_b64 s[26:27], 0
.LBB3_216:                              ;   Parent Loop BB3_150 Depth=1
                                        ; =>  This Inner Loop Header: Depth=2
	s_sleep 1
	global_store_dwordx2 v[2:3], v[8:9], off
	v_mov_b32_e32 v6, s20
	v_mov_b32_e32 v7, s21
	s_waitcnt vmcnt(0)
	global_atomic_cmpswap_x2 v[6:7], v26, v[6:9], s[36:37] offset:32 glc
	s_waitcnt vmcnt(0)
	v_cmp_eq_u64_e32 vcc, v[6:7], v[8:9]
	v_mov_b32_e32 v9, v7
	s_or_b64 s[26:27], vcc, s[26:27]
	v_mov_b32_e32 v8, v6
	s_andn2_b64 exec, exec, s[26:27]
	s_cbranch_execnz .LBB3_216
.LBB3_217:                              ;   in Loop: Header=BB3_150 Depth=1
	s_or_b64 exec, exec, s[24:25]
	global_load_dwordx2 v[2:3], v26, s[36:37] offset:16
	s_mov_b64 s[26:27], exec
	v_mbcnt_lo_u32_b32 v6, s26, 0
	v_mbcnt_hi_u32_b32 v6, s27, v6
	v_cmp_eq_u32_e32 vcc, 0, v6
	s_and_saveexec_b64 s[24:25], vcc
	s_cbranch_execz .LBB3_219
; %bb.218:                              ;   in Loop: Header=BB3_150 Depth=1
	s_bcnt1_i32_b64 s15, s[26:27]
	v_mov_b32_e32 v25, s15
	s_waitcnt vmcnt(0)
	global_atomic_add_x2 v[2:3], v[25:26], off offset:8
.LBB3_219:                              ;   in Loop: Header=BB3_150 Depth=1
	s_or_b64 exec, exec, s[24:25]
	s_waitcnt vmcnt(0)
	global_load_dwordx2 v[6:7], v[2:3], off offset:16
	s_waitcnt vmcnt(0)
	v_cmp_eq_u64_e32 vcc, 0, v[6:7]
	s_cbranch_vccnz .LBB3_221
; %bb.220:                              ;   in Loop: Header=BB3_150 Depth=1
	global_load_dword v25, v[2:3], off offset:24
	s_waitcnt vmcnt(0)
	v_and_b32_e32 v2, 0xffffff, v25
	v_readfirstlane_b32 m0, v2
	global_store_dwordx2 v[6:7], v[25:26], off
	s_sendmsg sendmsg(MSG_INTERRUPT)
.LBB3_221:                              ;   in Loop: Header=BB3_150 Depth=1
	s_or_b64 exec, exec, s[22:23]
	v_add_co_u32_e32 v2, vcc, v24, v39
	v_addc_co_u32_e32 v3, vcc, 0, v29, vcc
	s_branch .LBB3_225
.LBB3_222:                              ;   in Loop: Header=BB3_225 Depth=2
	s_or_b64 exec, exec, s[22:23]
	v_readfirstlane_b32 s15, v6
	s_cmp_eq_u32 s15, 0
	s_cbranch_scc1 .LBB3_224
; %bb.223:                              ;   in Loop: Header=BB3_225 Depth=2
	s_sleep 1
	s_cbranch_execnz .LBB3_225
	s_branch .LBB3_227
.LBB3_224:                              ;   in Loop: Header=BB3_150 Depth=1
	s_branch .LBB3_227
.LBB3_225:                              ;   Parent Loop BB3_150 Depth=1
                                        ; =>  This Inner Loop Header: Depth=2
	v_mov_b32_e32 v6, 1
	s_and_saveexec_b64 s[22:23], s[4:5]
	s_cbranch_execz .LBB3_222
; %bb.226:                              ;   in Loop: Header=BB3_225 Depth=2
	global_load_dword v6, v[27:28], off offset:20 glc
	s_waitcnt vmcnt(0)
	buffer_wbinvl1_vol
	v_and_b32_e32 v6, 1, v6
	s_branch .LBB3_222
.LBB3_227:                              ;   in Loop: Header=BB3_150 Depth=1
	global_load_dwordx4 v[6:9], v[2:3], off
	s_and_saveexec_b64 s[22:23], s[4:5]
	s_cbranch_execz .LBB3_149
; %bb.228:                              ;   in Loop: Header=BB3_150 Depth=1
	global_load_dwordx2 v[2:3], v26, s[36:37] offset:40
	global_load_dwordx2 v[12:13], v26, s[36:37] offset:24 glc
	global_load_dwordx2 v[14:15], v26, s[36:37]
	s_waitcnt vmcnt(3)
	v_mov_b32_e32 v9, s21
	s_waitcnt vmcnt(2)
	v_add_co_u32_e32 v10, vcc, 1, v2
	v_addc_co_u32_e32 v11, vcc, 0, v3, vcc
	v_add_co_u32_e32 v8, vcc, s20, v10
	v_addc_co_u32_e32 v9, vcc, v11, v9, vcc
	v_cmp_eq_u64_e32 vcc, 0, v[8:9]
	v_cndmask_b32_e32 v9, v9, v11, vcc
	v_cndmask_b32_e32 v8, v8, v10, vcc
	v_and_b32_e32 v3, v9, v3
	v_and_b32_e32 v2, v8, v2
	v_mul_lo_u32 v3, v3, 24
	v_mul_hi_u32 v11, v2, 24
	v_mul_lo_u32 v2, v2, 24
	s_waitcnt vmcnt(1)
	v_mov_b32_e32 v10, v12
	v_add_u32_e32 v3, v11, v3
	s_waitcnt vmcnt(0)
	v_add_co_u32_e32 v2, vcc, v14, v2
	v_addc_co_u32_e32 v3, vcc, v15, v3, vcc
	global_store_dwordx2 v[2:3], v[12:13], off
	v_mov_b32_e32 v11, v13
	s_waitcnt vmcnt(0)
	global_atomic_cmpswap_x2 v[10:11], v26, v[8:11], s[36:37] offset:24 glc
	s_waitcnt vmcnt(0)
	v_cmp_ne_u64_e32 vcc, v[10:11], v[12:13]
	s_and_b64 exec, exec, vcc
	s_cbranch_execz .LBB3_149
; %bb.229:                              ;   in Loop: Header=BB3_150 Depth=1
	s_mov_b64 s[4:5], 0
.LBB3_230:                              ;   Parent Loop BB3_150 Depth=1
                                        ; =>  This Inner Loop Header: Depth=2
	s_sleep 1
	global_store_dwordx2 v[2:3], v[10:11], off
	s_waitcnt vmcnt(0)
	global_atomic_cmpswap_x2 v[12:13], v26, v[8:11], s[36:37] offset:24 glc
	s_waitcnt vmcnt(0)
	v_cmp_eq_u64_e32 vcc, v[12:13], v[10:11]
	v_mov_b32_e32 v10, v12
	s_or_b64 s[4:5], vcc, s[4:5]
	v_mov_b32_e32 v11, v13
	s_andn2_b64 exec, exec, s[4:5]
	s_cbranch_execnz .LBB3_230
	s_branch .LBB3_149
.LBB3_231:
	s_branch .LBB3_259
.LBB3_232:
	s_cbranch_execz .LBB3_259
; %bb.233:
	v_readfirstlane_b32 s4, v50
	s_waitcnt vmcnt(0)
	v_mov_b32_e32 v8, 0
	v_mov_b32_e32 v9, 0
	v_cmp_eq_u32_e64 s[4:5], s4, v50
	s_and_saveexec_b64 s[10:11], s[4:5]
	s_cbranch_execz .LBB3_239
; %bb.234:
	v_mov_b32_e32 v2, 0
	global_load_dwordx2 v[5:6], v2, s[36:37] offset:24 glc
	s_waitcnt vmcnt(0)
	buffer_wbinvl1_vol
	global_load_dwordx2 v[3:4], v2, s[36:37] offset:40
	global_load_dwordx2 v[7:8], v2, s[36:37]
	s_waitcnt vmcnt(1)
	v_and_b32_e32 v3, v3, v5
	v_and_b32_e32 v4, v4, v6
	v_mul_lo_u32 v4, v4, 24
	v_mul_hi_u32 v9, v3, 24
	v_mul_lo_u32 v3, v3, 24
	v_add_u32_e32 v4, v9, v4
	s_waitcnt vmcnt(0)
	v_add_co_u32_e32 v3, vcc, v7, v3
	v_addc_co_u32_e32 v4, vcc, v8, v4, vcc
	global_load_dwordx2 v[3:4], v[3:4], off glc
	s_waitcnt vmcnt(0)
	global_atomic_cmpswap_x2 v[8:9], v2, v[3:6], s[36:37] offset:24 glc
	s_waitcnt vmcnt(0)
	buffer_wbinvl1_vol
	v_cmp_ne_u64_e32 vcc, v[8:9], v[5:6]
	s_and_saveexec_b64 s[16:17], vcc
	s_cbranch_execz .LBB3_238
; %bb.235:
	s_mov_b64 s[18:19], 0
.LBB3_236:                              ; =>This Inner Loop Header: Depth=1
	s_sleep 1
	global_load_dwordx2 v[3:4], v2, s[36:37] offset:40
	global_load_dwordx2 v[10:11], v2, s[36:37]
	v_mov_b32_e32 v5, v8
	v_mov_b32_e32 v6, v9
	s_waitcnt vmcnt(1)
	v_and_b32_e32 v3, v3, v5
	s_waitcnt vmcnt(0)
	v_mad_u64_u32 v[7:8], s[20:21], v3, 24, v[10:11]
	v_and_b32_e32 v4, v4, v6
	v_mov_b32_e32 v3, v8
	v_mad_u64_u32 v[3:4], s[20:21], v4, 24, v[3:4]
	v_mov_b32_e32 v8, v3
	global_load_dwordx2 v[3:4], v[7:8], off glc
	s_waitcnt vmcnt(0)
	global_atomic_cmpswap_x2 v[8:9], v2, v[3:6], s[36:37] offset:24 glc
	s_waitcnt vmcnt(0)
	buffer_wbinvl1_vol
	v_cmp_eq_u64_e32 vcc, v[8:9], v[5:6]
	s_or_b64 s[18:19], vcc, s[18:19]
	s_andn2_b64 exec, exec, s[18:19]
	s_cbranch_execnz .LBB3_236
; %bb.237:
	s_or_b64 exec, exec, s[18:19]
.LBB3_238:
	s_or_b64 exec, exec, s[16:17]
.LBB3_239:
	s_or_b64 exec, exec, s[10:11]
	v_mov_b32_e32 v2, 0
	global_load_dwordx2 v[10:11], v2, s[36:37] offset:40
	global_load_dwordx4 v[4:7], v2, s[36:37]
	v_readfirstlane_b32 s10, v8
	v_readfirstlane_b32 s11, v9
	s_mov_b64 s[16:17], exec
	s_waitcnt vmcnt(1)
	v_readfirstlane_b32 s18, v10
	v_readfirstlane_b32 s19, v11
	s_and_b64 s[18:19], s[10:11], s[18:19]
	s_mul_i32 s15, s19, 24
	s_mul_hi_u32 s20, s18, 24
	s_mul_i32 s21, s18, 24
	s_add_i32 s15, s20, s15
	v_mov_b32_e32 v3, s15
	s_waitcnt vmcnt(0)
	v_add_co_u32_e32 v8, vcc, s21, v4
	v_addc_co_u32_e32 v9, vcc, v5, v3, vcc
	s_and_saveexec_b64 s[20:21], s[4:5]
	s_cbranch_execz .LBB3_241
; %bb.240:
	v_mov_b32_e32 v10, s16
	v_mov_b32_e32 v11, s17
	;; [unrolled: 1-line block ×4, first 2 shown]
	global_store_dwordx4 v[8:9], v[10:13], off offset:8
.LBB3_241:
	s_or_b64 exec, exec, s[20:21]
	s_lshl_b64 s[16:17], s[18:19], 12
	v_mov_b32_e32 v3, s17
	v_add_co_u32_e32 v6, vcc, s16, v6
	v_addc_co_u32_e32 v7, vcc, v7, v3, vcc
	s_movk_i32 s15, 0xff1d
	v_and_or_b32 v0, v0, s15, 34
	s_mov_b32 s16, 0
	v_mov_b32_e32 v3, v2
	v_readfirstlane_b32 s20, v6
	v_readfirstlane_b32 s21, v7
	s_mov_b32 s17, s16
	s_mov_b32 s18, s16
	s_mov_b32 s19, s16
	s_nop 1
	global_store_dwordx4 v39, v[0:3], s[20:21]
	s_nop 0
	v_mov_b32_e32 v0, s16
	v_mov_b32_e32 v1, s17
	;; [unrolled: 1-line block ×4, first 2 shown]
	global_store_dwordx4 v39, v[0:3], s[20:21] offset:16
	global_store_dwordx4 v39, v[0:3], s[20:21] offset:32
	;; [unrolled: 1-line block ×3, first 2 shown]
	s_and_saveexec_b64 s[16:17], s[4:5]
	s_cbranch_execz .LBB3_249
; %bb.242:
	v_mov_b32_e32 v6, 0
	global_load_dwordx2 v[12:13], v6, s[36:37] offset:32 glc
	global_load_dwordx2 v[0:1], v6, s[36:37] offset:40
	v_mov_b32_e32 v10, s10
	v_mov_b32_e32 v11, s11
	s_waitcnt vmcnt(0)
	v_readfirstlane_b32 s18, v0
	v_readfirstlane_b32 s19, v1
	s_and_b64 s[18:19], s[18:19], s[10:11]
	s_mul_i32 s15, s19, 24
	s_mul_hi_u32 s19, s18, 24
	s_mul_i32 s18, s18, 24
	s_add_i32 s15, s19, s15
	v_mov_b32_e32 v0, s15
	v_add_co_u32_e32 v4, vcc, s18, v4
	v_addc_co_u32_e32 v5, vcc, v5, v0, vcc
	global_store_dwordx2 v[4:5], v[12:13], off
	s_waitcnt vmcnt(0)
	global_atomic_cmpswap_x2 v[2:3], v6, v[10:13], s[36:37] offset:32 glc
	s_waitcnt vmcnt(0)
	v_cmp_ne_u64_e32 vcc, v[2:3], v[12:13]
	s_and_saveexec_b64 s[18:19], vcc
	s_cbranch_execz .LBB3_245
; %bb.243:
	s_mov_b64 s[20:21], 0
.LBB3_244:                              ; =>This Inner Loop Header: Depth=1
	s_sleep 1
	global_store_dwordx2 v[4:5], v[2:3], off
	v_mov_b32_e32 v0, s10
	v_mov_b32_e32 v1, s11
	s_waitcnt vmcnt(0)
	global_atomic_cmpswap_x2 v[0:1], v6, v[0:3], s[36:37] offset:32 glc
	s_waitcnt vmcnt(0)
	v_cmp_eq_u64_e32 vcc, v[0:1], v[2:3]
	v_mov_b32_e32 v3, v1
	s_or_b64 s[20:21], vcc, s[20:21]
	v_mov_b32_e32 v2, v0
	s_andn2_b64 exec, exec, s[20:21]
	s_cbranch_execnz .LBB3_244
.LBB3_245:
	s_or_b64 exec, exec, s[18:19]
	v_mov_b32_e32 v3, 0
	global_load_dwordx2 v[0:1], v3, s[36:37] offset:16
	s_mov_b64 s[18:19], exec
	v_mbcnt_lo_u32_b32 v2, s18, 0
	v_mbcnt_hi_u32_b32 v2, s19, v2
	v_cmp_eq_u32_e32 vcc, 0, v2
	s_and_saveexec_b64 s[20:21], vcc
	s_cbranch_execz .LBB3_247
; %bb.246:
	s_bcnt1_i32_b64 s15, s[18:19]
	v_mov_b32_e32 v2, s15
	s_waitcnt vmcnt(0)
	global_atomic_add_x2 v[0:1], v[2:3], off offset:8
.LBB3_247:
	s_or_b64 exec, exec, s[20:21]
	s_waitcnt vmcnt(0)
	global_load_dwordx2 v[2:3], v[0:1], off offset:16
	s_waitcnt vmcnt(0)
	v_cmp_eq_u64_e32 vcc, 0, v[2:3]
	s_cbranch_vccnz .LBB3_249
; %bb.248:
	global_load_dword v0, v[0:1], off offset:24
	v_mov_b32_e32 v1, 0
	s_waitcnt vmcnt(0)
	global_store_dwordx2 v[2:3], v[0:1], off
	v_and_b32_e32 v0, 0xffffff, v0
	v_readfirstlane_b32 m0, v0
	s_sendmsg sendmsg(MSG_INTERRUPT)
.LBB3_249:
	s_or_b64 exec, exec, s[16:17]
	s_branch .LBB3_253
.LBB3_250:                              ;   in Loop: Header=BB3_253 Depth=1
	s_or_b64 exec, exec, s[16:17]
	v_readfirstlane_b32 s15, v0
	s_cmp_eq_u32 s15, 0
	s_cbranch_scc1 .LBB3_252
; %bb.251:                              ;   in Loop: Header=BB3_253 Depth=1
	s_sleep 1
	s_cbranch_execnz .LBB3_253
	s_branch .LBB3_255
.LBB3_252:
	s_branch .LBB3_255
.LBB3_253:                              ; =>This Inner Loop Header: Depth=1
	v_mov_b32_e32 v0, 1
	s_and_saveexec_b64 s[16:17], s[4:5]
	s_cbranch_execz .LBB3_250
; %bb.254:                              ;   in Loop: Header=BB3_253 Depth=1
	global_load_dword v0, v[8:9], off offset:20 glc
	s_waitcnt vmcnt(0)
	buffer_wbinvl1_vol
	v_and_b32_e32 v0, 1, v0
	s_branch .LBB3_250
.LBB3_255:
	s_and_saveexec_b64 s[16:17], s[4:5]
	s_cbranch_execz .LBB3_258
; %bb.256:
	v_mov_b32_e32 v6, 0
	global_load_dwordx2 v[2:3], v6, s[36:37] offset:40
	global_load_dwordx2 v[7:8], v6, s[36:37] offset:24 glc
	global_load_dwordx2 v[4:5], v6, s[36:37]
	v_mov_b32_e32 v1, s11
	s_mov_b64 s[4:5], 0
	s_waitcnt vmcnt(2)
	v_add_co_u32_e32 v9, vcc, 1, v2
	v_addc_co_u32_e32 v10, vcc, 0, v3, vcc
	v_add_co_u32_e32 v0, vcc, s10, v9
	v_addc_co_u32_e32 v1, vcc, v10, v1, vcc
	v_cmp_eq_u64_e32 vcc, 0, v[0:1]
	v_cndmask_b32_e32 v1, v1, v10, vcc
	v_cndmask_b32_e32 v0, v0, v9, vcc
	v_and_b32_e32 v3, v1, v3
	v_and_b32_e32 v2, v0, v2
	v_mul_lo_u32 v3, v3, 24
	v_mul_hi_u32 v9, v2, 24
	v_mul_lo_u32 v10, v2, 24
	s_waitcnt vmcnt(1)
	v_mov_b32_e32 v2, v7
	v_add_u32_e32 v3, v9, v3
	s_waitcnt vmcnt(0)
	v_add_co_u32_e32 v4, vcc, v4, v10
	v_addc_co_u32_e32 v5, vcc, v5, v3, vcc
	global_store_dwordx2 v[4:5], v[7:8], off
	v_mov_b32_e32 v3, v8
	s_waitcnt vmcnt(0)
	global_atomic_cmpswap_x2 v[2:3], v6, v[0:3], s[36:37] offset:24 glc
	s_waitcnt vmcnt(0)
	v_cmp_ne_u64_e32 vcc, v[2:3], v[7:8]
	s_and_b64 exec, exec, vcc
	s_cbranch_execz .LBB3_258
.LBB3_257:                              ; =>This Inner Loop Header: Depth=1
	s_sleep 1
	global_store_dwordx2 v[4:5], v[2:3], off
	s_waitcnt vmcnt(0)
	global_atomic_cmpswap_x2 v[7:8], v6, v[0:3], s[36:37] offset:24 glc
	s_waitcnt vmcnt(0)
	v_cmp_eq_u64_e32 vcc, v[7:8], v[2:3]
	v_mov_b32_e32 v2, v7
	s_or_b64 s[4:5], vcc, s[4:5]
	v_mov_b32_e32 v3, v8
	s_andn2_b64 exec, exec, s[4:5]
	s_cbranch_execnz .LBB3_257
.LBB3_258:
	s_or_b64 exec, exec, s[16:17]
.LBB3_259:
	v_readfirstlane_b32 s4, v50
	s_waitcnt vmcnt(0)
	v_mov_b32_e32 v5, 0
	v_mov_b32_e32 v6, 0
	v_cmp_eq_u32_e64 s[4:5], s4, v50
	s_and_saveexec_b64 s[10:11], s[4:5]
	s_cbranch_execz .LBB3_265
; %bb.260:
	v_mov_b32_e32 v0, 0
	global_load_dwordx2 v[3:4], v0, s[36:37] offset:24 glc
	s_waitcnt vmcnt(0)
	buffer_wbinvl1_vol
	global_load_dwordx2 v[1:2], v0, s[36:37] offset:40
	global_load_dwordx2 v[5:6], v0, s[36:37]
	s_waitcnt vmcnt(1)
	v_and_b32_e32 v1, v1, v3
	v_and_b32_e32 v2, v2, v4
	v_mul_lo_u32 v2, v2, 24
	v_mul_hi_u32 v7, v1, 24
	v_mul_lo_u32 v1, v1, 24
	v_add_u32_e32 v2, v7, v2
	s_waitcnt vmcnt(0)
	v_add_co_u32_e32 v1, vcc, v5, v1
	v_addc_co_u32_e32 v2, vcc, v6, v2, vcc
	global_load_dwordx2 v[1:2], v[1:2], off glc
	s_waitcnt vmcnt(0)
	global_atomic_cmpswap_x2 v[5:6], v0, v[1:4], s[36:37] offset:24 glc
	s_waitcnt vmcnt(0)
	buffer_wbinvl1_vol
	v_cmp_ne_u64_e32 vcc, v[5:6], v[3:4]
	s_and_saveexec_b64 s[16:17], vcc
	s_cbranch_execz .LBB3_264
; %bb.261:
	s_mov_b64 s[18:19], 0
.LBB3_262:                              ; =>This Inner Loop Header: Depth=1
	s_sleep 1
	global_load_dwordx2 v[1:2], v0, s[36:37] offset:40
	global_load_dwordx2 v[7:8], v0, s[36:37]
	v_mov_b32_e32 v3, v5
	v_mov_b32_e32 v4, v6
	s_waitcnt vmcnt(1)
	v_and_b32_e32 v1, v1, v3
	s_waitcnt vmcnt(0)
	v_mad_u64_u32 v[5:6], s[20:21], v1, 24, v[7:8]
	v_and_b32_e32 v2, v2, v4
	v_mov_b32_e32 v1, v6
	v_mad_u64_u32 v[1:2], s[20:21], v2, 24, v[1:2]
	v_mov_b32_e32 v6, v1
	global_load_dwordx2 v[1:2], v[5:6], off glc
	s_waitcnt vmcnt(0)
	global_atomic_cmpswap_x2 v[5:6], v0, v[1:4], s[36:37] offset:24 glc
	s_waitcnt vmcnt(0)
	buffer_wbinvl1_vol
	v_cmp_eq_u64_e32 vcc, v[5:6], v[3:4]
	s_or_b64 s[18:19], vcc, s[18:19]
	s_andn2_b64 exec, exec, s[18:19]
	s_cbranch_execnz .LBB3_262
; %bb.263:
	s_or_b64 exec, exec, s[18:19]
.LBB3_264:
	s_or_b64 exec, exec, s[16:17]
.LBB3_265:
	s_or_b64 exec, exec, s[10:11]
	v_mov_b32_e32 v4, 0
	global_load_dwordx2 v[7:8], v4, s[36:37] offset:40
	global_load_dwordx4 v[0:3], v4, s[36:37]
	v_readfirstlane_b32 s10, v5
	v_readfirstlane_b32 s11, v6
	s_mov_b64 s[16:17], exec
	s_waitcnt vmcnt(1)
	v_readfirstlane_b32 s18, v7
	v_readfirstlane_b32 s19, v8
	s_and_b64 s[18:19], s[10:11], s[18:19]
	s_mul_i32 s15, s19, 24
	s_mul_hi_u32 s20, s18, 24
	s_mul_i32 s21, s18, 24
	s_add_i32 s15, s20, s15
	v_mov_b32_e32 v5, s15
	s_waitcnt vmcnt(0)
	v_add_co_u32_e32 v7, vcc, s21, v0
	v_addc_co_u32_e32 v8, vcc, v1, v5, vcc
	s_and_saveexec_b64 s[20:21], s[4:5]
	s_cbranch_execz .LBB3_267
; %bb.266:
	v_mov_b32_e32 v9, s16
	v_mov_b32_e32 v10, s17
	;; [unrolled: 1-line block ×4, first 2 shown]
	global_store_dwordx4 v[7:8], v[9:12], off offset:8
.LBB3_267:
	s_or_b64 exec, exec, s[20:21]
	s_lshl_b64 s[16:17], s[18:19], 12
	v_mov_b32_e32 v5, s17
	v_add_co_u32_e32 v2, vcc, s16, v2
	v_addc_co_u32_e32 v11, vcc, v3, v5, vcc
	s_mov_b32 s16, 0
	v_mov_b32_e32 v3, 33
	v_mov_b32_e32 v5, v4
	;; [unrolled: 1-line block ×3, first 2 shown]
	v_readfirstlane_b32 s20, v2
	v_readfirstlane_b32 s21, v11
	v_add_co_u32_e32 v9, vcc, v2, v39
	s_mov_b32 s17, s16
	s_mov_b32 s18, s16
	s_mov_b32 s19, s16
	s_nop 0
	global_store_dwordx4 v39, v[3:6], s[20:21]
	v_mov_b32_e32 v2, s16
	v_addc_co_u32_e32 v10, vcc, 0, v11, vcc
	v_mov_b32_e32 v3, s17
	v_mov_b32_e32 v4, s18
	;; [unrolled: 1-line block ×3, first 2 shown]
	global_store_dwordx4 v39, v[2:5], s[20:21] offset:16
	global_store_dwordx4 v39, v[2:5], s[20:21] offset:32
	;; [unrolled: 1-line block ×3, first 2 shown]
	s_and_saveexec_b64 s[16:17], s[4:5]
	s_cbranch_execz .LBB3_275
; %bb.268:
	v_mov_b32_e32 v6, 0
	global_load_dwordx2 v[13:14], v6, s[36:37] offset:32 glc
	global_load_dwordx2 v[2:3], v6, s[36:37] offset:40
	v_mov_b32_e32 v11, s10
	v_mov_b32_e32 v12, s11
	s_waitcnt vmcnt(0)
	v_readfirstlane_b32 s18, v2
	v_readfirstlane_b32 s19, v3
	s_and_b64 s[18:19], s[18:19], s[10:11]
	s_mul_i32 s15, s19, 24
	s_mul_hi_u32 s19, s18, 24
	s_mul_i32 s18, s18, 24
	s_add_i32 s15, s19, s15
	v_mov_b32_e32 v2, s15
	v_add_co_u32_e32 v4, vcc, s18, v0
	v_addc_co_u32_e32 v5, vcc, v1, v2, vcc
	global_store_dwordx2 v[4:5], v[13:14], off
	s_waitcnt vmcnt(0)
	global_atomic_cmpswap_x2 v[2:3], v6, v[11:14], s[36:37] offset:32 glc
	s_waitcnt vmcnt(0)
	v_cmp_ne_u64_e32 vcc, v[2:3], v[13:14]
	s_and_saveexec_b64 s[18:19], vcc
	s_cbranch_execz .LBB3_271
; %bb.269:
	s_mov_b64 s[20:21], 0
.LBB3_270:                              ; =>This Inner Loop Header: Depth=1
	s_sleep 1
	global_store_dwordx2 v[4:5], v[2:3], off
	v_mov_b32_e32 v0, s10
	v_mov_b32_e32 v1, s11
	s_waitcnt vmcnt(0)
	global_atomic_cmpswap_x2 v[0:1], v6, v[0:3], s[36:37] offset:32 glc
	s_waitcnt vmcnt(0)
	v_cmp_eq_u64_e32 vcc, v[0:1], v[2:3]
	v_mov_b32_e32 v3, v1
	s_or_b64 s[20:21], vcc, s[20:21]
	v_mov_b32_e32 v2, v0
	s_andn2_b64 exec, exec, s[20:21]
	s_cbranch_execnz .LBB3_270
.LBB3_271:
	s_or_b64 exec, exec, s[18:19]
	v_mov_b32_e32 v3, 0
	global_load_dwordx2 v[0:1], v3, s[36:37] offset:16
	s_mov_b64 s[18:19], exec
	v_mbcnt_lo_u32_b32 v2, s18, 0
	v_mbcnt_hi_u32_b32 v2, s19, v2
	v_cmp_eq_u32_e32 vcc, 0, v2
	s_and_saveexec_b64 s[20:21], vcc
	s_cbranch_execz .LBB3_273
; %bb.272:
	s_bcnt1_i32_b64 s15, s[18:19]
	v_mov_b32_e32 v2, s15
	s_waitcnt vmcnt(0)
	global_atomic_add_x2 v[0:1], v[2:3], off offset:8
.LBB3_273:
	s_or_b64 exec, exec, s[20:21]
	s_waitcnt vmcnt(0)
	global_load_dwordx2 v[2:3], v[0:1], off offset:16
	s_waitcnt vmcnt(0)
	v_cmp_eq_u64_e32 vcc, 0, v[2:3]
	s_cbranch_vccnz .LBB3_275
; %bb.274:
	global_load_dword v0, v[0:1], off offset:24
	v_mov_b32_e32 v1, 0
	s_waitcnt vmcnt(0)
	global_store_dwordx2 v[2:3], v[0:1], off
	v_and_b32_e32 v0, 0xffffff, v0
	v_readfirstlane_b32 m0, v0
	s_sendmsg sendmsg(MSG_INTERRUPT)
.LBB3_275:
	s_or_b64 exec, exec, s[16:17]
	s_branch .LBB3_279
.LBB3_276:                              ;   in Loop: Header=BB3_279 Depth=1
	s_or_b64 exec, exec, s[16:17]
	v_readfirstlane_b32 s15, v0
	s_cmp_eq_u32 s15, 0
	s_cbranch_scc1 .LBB3_278
; %bb.277:                              ;   in Loop: Header=BB3_279 Depth=1
	s_sleep 1
	s_cbranch_execnz .LBB3_279
	s_branch .LBB3_281
.LBB3_278:
	s_branch .LBB3_281
.LBB3_279:                              ; =>This Inner Loop Header: Depth=1
	v_mov_b32_e32 v0, 1
	s_and_saveexec_b64 s[16:17], s[4:5]
	s_cbranch_execz .LBB3_276
; %bb.280:                              ;   in Loop: Header=BB3_279 Depth=1
	global_load_dword v0, v[7:8], off offset:20 glc
	s_waitcnt vmcnt(0)
	buffer_wbinvl1_vol
	v_and_b32_e32 v0, 1, v0
	s_branch .LBB3_276
.LBB3_281:
	global_load_dwordx2 v[0:1], v[9:10], off
	s_and_saveexec_b64 s[16:17], s[4:5]
	s_cbranch_execz .LBB3_284
; %bb.282:
	v_mov_b32_e32 v8, 0
	global_load_dwordx2 v[4:5], v8, s[36:37] offset:40
	global_load_dwordx2 v[9:10], v8, s[36:37] offset:24 glc
	global_load_dwordx2 v[6:7], v8, s[36:37]
	v_mov_b32_e32 v3, s11
	s_mov_b64 s[4:5], 0
	s_waitcnt vmcnt(2)
	v_add_co_u32_e32 v11, vcc, 1, v4
	v_addc_co_u32_e32 v12, vcc, 0, v5, vcc
	v_add_co_u32_e32 v2, vcc, s10, v11
	v_addc_co_u32_e32 v3, vcc, v12, v3, vcc
	v_cmp_eq_u64_e32 vcc, 0, v[2:3]
	v_cndmask_b32_e32 v3, v3, v12, vcc
	v_cndmask_b32_e32 v2, v2, v11, vcc
	v_and_b32_e32 v5, v3, v5
	v_and_b32_e32 v4, v2, v4
	v_mul_lo_u32 v5, v5, 24
	v_mul_hi_u32 v11, v4, 24
	v_mul_lo_u32 v12, v4, 24
	s_waitcnt vmcnt(1)
	v_mov_b32_e32 v4, v9
	v_add_u32_e32 v5, v11, v5
	s_waitcnt vmcnt(0)
	v_add_co_u32_e32 v6, vcc, v6, v12
	v_addc_co_u32_e32 v7, vcc, v7, v5, vcc
	global_store_dwordx2 v[6:7], v[9:10], off
	v_mov_b32_e32 v5, v10
	s_waitcnt vmcnt(0)
	global_atomic_cmpswap_x2 v[4:5], v8, v[2:5], s[36:37] offset:24 glc
	s_waitcnt vmcnt(0)
	v_cmp_ne_u64_e32 vcc, v[4:5], v[9:10]
	s_and_b64 exec, exec, vcc
	s_cbranch_execz .LBB3_284
.LBB3_283:                              ; =>This Inner Loop Header: Depth=1
	s_sleep 1
	global_store_dwordx2 v[6:7], v[4:5], off
	s_waitcnt vmcnt(0)
	global_atomic_cmpswap_x2 v[9:10], v8, v[2:5], s[36:37] offset:24 glc
	s_waitcnt vmcnt(0)
	v_cmp_eq_u64_e32 vcc, v[9:10], v[4:5]
	v_mov_b32_e32 v4, v9
	s_or_b64 s[4:5], vcc, s[4:5]
	v_mov_b32_e32 v5, v10
	s_andn2_b64 exec, exec, s[4:5]
	s_cbranch_execnz .LBB3_283
.LBB3_284:
	s_or_b64 exec, exec, s[16:17]
	s_getpc_b64 s[10:11]
	s_add_u32 s10, s10, .str.6@rel32@lo+4
	s_addc_u32 s11, s11, .str.6@rel32@hi+12
	s_cmp_lg_u64 s[10:11], 0
	s_cselect_b64 s[40:41], -1, 0
	s_and_b64 vcc, exec, s[40:41]
	s_cbranch_vccz .LBB3_369
; %bb.285:
	s_waitcnt vmcnt(0)
	v_and_b32_e32 v31, 2, v0
	v_mov_b32_e32 v28, 0
	v_and_b32_e32 v2, -3, v0
	v_mov_b32_e32 v3, v1
	s_mov_b64 s[16:17], 3
	v_mov_b32_e32 v6, 2
	v_mov_b32_e32 v7, 1
	s_branch .LBB3_287
.LBB3_286:                              ;   in Loop: Header=BB3_287 Depth=1
	s_or_b64 exec, exec, s[22:23]
	s_sub_u32 s16, s16, s18
	s_subb_u32 s17, s17, s19
	s_add_u32 s10, s10, s18
	s_addc_u32 s11, s11, s19
	s_cmp_lg_u64 s[16:17], 0
	s_cbranch_scc0 .LBB3_368
.LBB3_287:                              ; =>This Loop Header: Depth=1
                                        ;     Child Loop BB3_290 Depth 2
                                        ;     Child Loop BB3_297 Depth 2
	;; [unrolled: 1-line block ×11, first 2 shown]
	v_cmp_lt_u64_e64 s[4:5], s[16:17], 56
	v_cmp_gt_u64_e64 s[20:21], s[16:17], 7
	s_and_b64 s[4:5], s[4:5], exec
	s_cselect_b32 s19, s17, 0
	s_cselect_b32 s18, s16, 56
	s_and_b64 vcc, exec, s[20:21]
	s_cbranch_vccnz .LBB3_292
; %bb.288:                              ;   in Loop: Header=BB3_287 Depth=1
	v_mov_b32_e32 v10, 0
	s_cmp_eq_u64 s[16:17], 0
	v_mov_b32_e32 v11, 0
	s_mov_b64 s[4:5], 0
	s_cbranch_scc1 .LBB3_291
; %bb.289:                              ;   in Loop: Header=BB3_287 Depth=1
	v_mov_b32_e32 v10, 0
	s_lshl_b64 s[20:21], s[18:19], 3
	s_mov_b64 s[22:23], 0
	v_mov_b32_e32 v11, 0
	s_mov_b64 s[24:25], s[10:11]
.LBB3_290:                              ;   Parent Loop BB3_287 Depth=1
                                        ; =>  This Inner Loop Header: Depth=2
	global_load_ubyte v4, v28, s[24:25]
	s_waitcnt vmcnt(0)
	v_and_b32_e32 v27, 0xffff, v4
	v_lshlrev_b64 v[4:5], s22, v[27:28]
	s_add_u32 s22, s22, 8
	s_addc_u32 s23, s23, 0
	s_add_u32 s24, s24, 1
	s_addc_u32 s25, s25, 0
	v_or_b32_e32 v10, v4, v10
	s_cmp_lg_u32 s20, s22
	v_or_b32_e32 v11, v5, v11
	s_cbranch_scc1 .LBB3_290
.LBB3_291:                              ;   in Loop: Header=BB3_287 Depth=1
	s_mov_b32 s15, 0
	s_andn2_b64 vcc, exec, s[4:5]
	s_mov_b64 s[4:5], s[10:11]
	s_cbranch_vccz .LBB3_293
	s_branch .LBB3_294
.LBB3_292:                              ;   in Loop: Header=BB3_287 Depth=1
                                        ; implicit-def: $vgpr10_vgpr11
                                        ; implicit-def: $sgpr15
	s_mov_b64 s[4:5], s[10:11]
.LBB3_293:                              ;   in Loop: Header=BB3_287 Depth=1
	global_load_dwordx2 v[10:11], v28, s[10:11]
	s_add_i32 s15, s18, -8
	s_add_u32 s4, s10, 8
	s_addc_u32 s5, s11, 0
.LBB3_294:                              ;   in Loop: Header=BB3_287 Depth=1
	s_cmp_gt_u32 s15, 7
	s_cbranch_scc1 .LBB3_298
; %bb.295:                              ;   in Loop: Header=BB3_287 Depth=1
	s_cmp_eq_u32 s15, 0
	s_cbranch_scc1 .LBB3_299
; %bb.296:                              ;   in Loop: Header=BB3_287 Depth=1
	v_mov_b32_e32 v12, 0
	s_mov_b64 s[20:21], 0
	v_mov_b32_e32 v13, 0
	s_mov_b64 s[22:23], 0
.LBB3_297:                              ;   Parent Loop BB3_287 Depth=1
                                        ; =>  This Inner Loop Header: Depth=2
	s_add_u32 s24, s4, s22
	s_addc_u32 s25, s5, s23
	global_load_ubyte v4, v28, s[24:25]
	s_add_u32 s22, s22, 1
	s_addc_u32 s23, s23, 0
	s_waitcnt vmcnt(0)
	v_and_b32_e32 v27, 0xffff, v4
	v_lshlrev_b64 v[4:5], s20, v[27:28]
	s_add_u32 s20, s20, 8
	s_addc_u32 s21, s21, 0
	v_or_b32_e32 v12, v4, v12
	s_cmp_lg_u32 s15, s22
	v_or_b32_e32 v13, v5, v13
	s_cbranch_scc1 .LBB3_297
	s_branch .LBB3_300
.LBB3_298:                              ;   in Loop: Header=BB3_287 Depth=1
                                        ; implicit-def: $vgpr12_vgpr13
                                        ; implicit-def: $sgpr24
	s_branch .LBB3_301
.LBB3_299:                              ;   in Loop: Header=BB3_287 Depth=1
	v_mov_b32_e32 v12, 0
	v_mov_b32_e32 v13, 0
.LBB3_300:                              ;   in Loop: Header=BB3_287 Depth=1
	s_mov_b32 s24, 0
	s_cbranch_execnz .LBB3_302
.LBB3_301:                              ;   in Loop: Header=BB3_287 Depth=1
	global_load_dwordx2 v[12:13], v28, s[4:5]
	s_add_i32 s24, s15, -8
	s_add_u32 s4, s4, 8
	s_addc_u32 s5, s5, 0
.LBB3_302:                              ;   in Loop: Header=BB3_287 Depth=1
	s_cmp_gt_u32 s24, 7
	s_cbranch_scc1 .LBB3_306
; %bb.303:                              ;   in Loop: Header=BB3_287 Depth=1
	s_cmp_eq_u32 s24, 0
	s_cbranch_scc1 .LBB3_307
; %bb.304:                              ;   in Loop: Header=BB3_287 Depth=1
	v_mov_b32_e32 v14, 0
	s_mov_b64 s[20:21], 0
	v_mov_b32_e32 v15, 0
	s_mov_b64 s[22:23], 0
.LBB3_305:                              ;   Parent Loop BB3_287 Depth=1
                                        ; =>  This Inner Loop Header: Depth=2
	s_add_u32 s26, s4, s22
	s_addc_u32 s27, s5, s23
	global_load_ubyte v4, v28, s[26:27]
	s_add_u32 s22, s22, 1
	s_addc_u32 s23, s23, 0
	s_waitcnt vmcnt(0)
	v_and_b32_e32 v27, 0xffff, v4
	v_lshlrev_b64 v[4:5], s20, v[27:28]
	s_add_u32 s20, s20, 8
	s_addc_u32 s21, s21, 0
	v_or_b32_e32 v14, v4, v14
	s_cmp_lg_u32 s24, s22
	v_or_b32_e32 v15, v5, v15
	s_cbranch_scc1 .LBB3_305
	s_branch .LBB3_308
.LBB3_306:                              ;   in Loop: Header=BB3_287 Depth=1
                                        ; implicit-def: $sgpr15
	s_branch .LBB3_309
.LBB3_307:                              ;   in Loop: Header=BB3_287 Depth=1
	v_mov_b32_e32 v14, 0
	v_mov_b32_e32 v15, 0
.LBB3_308:                              ;   in Loop: Header=BB3_287 Depth=1
	s_mov_b32 s15, 0
	s_cbranch_execnz .LBB3_310
.LBB3_309:                              ;   in Loop: Header=BB3_287 Depth=1
	global_load_dwordx2 v[14:15], v28, s[4:5]
	s_add_i32 s15, s24, -8
	s_add_u32 s4, s4, 8
	s_addc_u32 s5, s5, 0
.LBB3_310:                              ;   in Loop: Header=BB3_287 Depth=1
	s_cmp_gt_u32 s15, 7
	s_cbranch_scc1 .LBB3_314
; %bb.311:                              ;   in Loop: Header=BB3_287 Depth=1
	s_cmp_eq_u32 s15, 0
	s_cbranch_scc1 .LBB3_315
; %bb.312:                              ;   in Loop: Header=BB3_287 Depth=1
	v_mov_b32_e32 v16, 0
	s_mov_b64 s[20:21], 0
	v_mov_b32_e32 v17, 0
	s_mov_b64 s[22:23], 0
.LBB3_313:                              ;   Parent Loop BB3_287 Depth=1
                                        ; =>  This Inner Loop Header: Depth=2
	s_add_u32 s24, s4, s22
	s_addc_u32 s25, s5, s23
	global_load_ubyte v4, v28, s[24:25]
	s_add_u32 s22, s22, 1
	s_addc_u32 s23, s23, 0
	s_waitcnt vmcnt(0)
	v_and_b32_e32 v27, 0xffff, v4
	v_lshlrev_b64 v[4:5], s20, v[27:28]
	s_add_u32 s20, s20, 8
	s_addc_u32 s21, s21, 0
	v_or_b32_e32 v16, v4, v16
	s_cmp_lg_u32 s15, s22
	v_or_b32_e32 v17, v5, v17
	s_cbranch_scc1 .LBB3_313
	s_branch .LBB3_316
.LBB3_314:                              ;   in Loop: Header=BB3_287 Depth=1
                                        ; implicit-def: $vgpr16_vgpr17
                                        ; implicit-def: $sgpr24
	s_branch .LBB3_317
.LBB3_315:                              ;   in Loop: Header=BB3_287 Depth=1
	v_mov_b32_e32 v16, 0
	v_mov_b32_e32 v17, 0
.LBB3_316:                              ;   in Loop: Header=BB3_287 Depth=1
	s_mov_b32 s24, 0
	s_cbranch_execnz .LBB3_318
.LBB3_317:                              ;   in Loop: Header=BB3_287 Depth=1
	global_load_dwordx2 v[16:17], v28, s[4:5]
	s_add_i32 s24, s15, -8
	s_add_u32 s4, s4, 8
	s_addc_u32 s5, s5, 0
.LBB3_318:                              ;   in Loop: Header=BB3_287 Depth=1
	s_cmp_gt_u32 s24, 7
	s_cbranch_scc1 .LBB3_322
; %bb.319:                              ;   in Loop: Header=BB3_287 Depth=1
	s_cmp_eq_u32 s24, 0
	s_cbranch_scc1 .LBB3_323
; %bb.320:                              ;   in Loop: Header=BB3_287 Depth=1
	v_mov_b32_e32 v18, 0
	s_mov_b64 s[20:21], 0
	v_mov_b32_e32 v19, 0
	s_mov_b64 s[22:23], 0
.LBB3_321:                              ;   Parent Loop BB3_287 Depth=1
                                        ; =>  This Inner Loop Header: Depth=2
	s_add_u32 s26, s4, s22
	s_addc_u32 s27, s5, s23
	global_load_ubyte v4, v28, s[26:27]
	s_add_u32 s22, s22, 1
	s_addc_u32 s23, s23, 0
	s_waitcnt vmcnt(0)
	v_and_b32_e32 v27, 0xffff, v4
	v_lshlrev_b64 v[4:5], s20, v[27:28]
	s_add_u32 s20, s20, 8
	s_addc_u32 s21, s21, 0
	v_or_b32_e32 v18, v4, v18
	s_cmp_lg_u32 s24, s22
	v_or_b32_e32 v19, v5, v19
	s_cbranch_scc1 .LBB3_321
	s_branch .LBB3_324
.LBB3_322:                              ;   in Loop: Header=BB3_287 Depth=1
                                        ; implicit-def: $sgpr15
	s_branch .LBB3_325
.LBB3_323:                              ;   in Loop: Header=BB3_287 Depth=1
	v_mov_b32_e32 v18, 0
	v_mov_b32_e32 v19, 0
.LBB3_324:                              ;   in Loop: Header=BB3_287 Depth=1
	s_mov_b32 s15, 0
	s_cbranch_execnz .LBB3_326
.LBB3_325:                              ;   in Loop: Header=BB3_287 Depth=1
	global_load_dwordx2 v[18:19], v28, s[4:5]
	s_add_i32 s15, s24, -8
	s_add_u32 s4, s4, 8
	s_addc_u32 s5, s5, 0
.LBB3_326:                              ;   in Loop: Header=BB3_287 Depth=1
	s_cmp_gt_u32 s15, 7
	s_cbranch_scc1 .LBB3_330
; %bb.327:                              ;   in Loop: Header=BB3_287 Depth=1
	s_cmp_eq_u32 s15, 0
	s_cbranch_scc1 .LBB3_331
; %bb.328:                              ;   in Loop: Header=BB3_287 Depth=1
	v_mov_b32_e32 v20, 0
	s_mov_b64 s[20:21], 0
	v_mov_b32_e32 v21, 0
	s_mov_b64 s[22:23], 0
.LBB3_329:                              ;   Parent Loop BB3_287 Depth=1
                                        ; =>  This Inner Loop Header: Depth=2
	s_add_u32 s24, s4, s22
	s_addc_u32 s25, s5, s23
	global_load_ubyte v4, v28, s[24:25]
	s_add_u32 s22, s22, 1
	s_addc_u32 s23, s23, 0
	s_waitcnt vmcnt(0)
	v_and_b32_e32 v27, 0xffff, v4
	v_lshlrev_b64 v[4:5], s20, v[27:28]
	s_add_u32 s20, s20, 8
	s_addc_u32 s21, s21, 0
	v_or_b32_e32 v20, v4, v20
	s_cmp_lg_u32 s15, s22
	v_or_b32_e32 v21, v5, v21
	s_cbranch_scc1 .LBB3_329
	s_branch .LBB3_332
.LBB3_330:                              ;   in Loop: Header=BB3_287 Depth=1
                                        ; implicit-def: $vgpr20_vgpr21
                                        ; implicit-def: $sgpr24
	s_branch .LBB3_333
.LBB3_331:                              ;   in Loop: Header=BB3_287 Depth=1
	v_mov_b32_e32 v20, 0
	v_mov_b32_e32 v21, 0
.LBB3_332:                              ;   in Loop: Header=BB3_287 Depth=1
	s_mov_b32 s24, 0
	s_cbranch_execnz .LBB3_334
.LBB3_333:                              ;   in Loop: Header=BB3_287 Depth=1
	global_load_dwordx2 v[20:21], v28, s[4:5]
	s_add_i32 s24, s15, -8
	s_add_u32 s4, s4, 8
	s_addc_u32 s5, s5, 0
.LBB3_334:                              ;   in Loop: Header=BB3_287 Depth=1
	s_cmp_gt_u32 s24, 7
	s_cbranch_scc1 .LBB3_338
; %bb.335:                              ;   in Loop: Header=BB3_287 Depth=1
	s_cmp_eq_u32 s24, 0
	s_cbranch_scc1 .LBB3_339
; %bb.336:                              ;   in Loop: Header=BB3_287 Depth=1
	v_mov_b32_e32 v22, 0
	s_mov_b64 s[20:21], 0
	v_mov_b32_e32 v23, 0
	s_mov_b64 s[22:23], s[4:5]
.LBB3_337:                              ;   Parent Loop BB3_287 Depth=1
                                        ; =>  This Inner Loop Header: Depth=2
	global_load_ubyte v4, v28, s[22:23]
	s_add_i32 s24, s24, -1
	s_waitcnt vmcnt(0)
	v_and_b32_e32 v27, 0xffff, v4
	v_lshlrev_b64 v[4:5], s20, v[27:28]
	s_add_u32 s20, s20, 8
	s_addc_u32 s21, s21, 0
	s_add_u32 s22, s22, 1
	s_addc_u32 s23, s23, 0
	v_or_b32_e32 v22, v4, v22
	s_cmp_lg_u32 s24, 0
	v_or_b32_e32 v23, v5, v23
	s_cbranch_scc1 .LBB3_337
	s_branch .LBB3_340
.LBB3_338:                              ;   in Loop: Header=BB3_287 Depth=1
	s_branch .LBB3_341
.LBB3_339:                              ;   in Loop: Header=BB3_287 Depth=1
	v_mov_b32_e32 v22, 0
	v_mov_b32_e32 v23, 0
.LBB3_340:                              ;   in Loop: Header=BB3_287 Depth=1
	s_cbranch_execnz .LBB3_342
.LBB3_341:                              ;   in Loop: Header=BB3_287 Depth=1
	global_load_dwordx2 v[22:23], v28, s[4:5]
.LBB3_342:                              ;   in Loop: Header=BB3_287 Depth=1
	v_readfirstlane_b32 s4, v50
	s_waitcnt vmcnt(0)
	v_mov_b32_e32 v4, 0
	v_mov_b32_e32 v5, 0
	v_cmp_eq_u32_e64 s[4:5], s4, v50
	s_and_saveexec_b64 s[20:21], s[4:5]
	s_cbranch_execz .LBB3_348
; %bb.343:                              ;   in Loop: Header=BB3_287 Depth=1
	global_load_dwordx2 v[26:27], v28, s[36:37] offset:24 glc
	s_waitcnt vmcnt(0)
	buffer_wbinvl1_vol
	global_load_dwordx2 v[4:5], v28, s[36:37] offset:40
	global_load_dwordx2 v[8:9], v28, s[36:37]
	s_waitcnt vmcnt(1)
	v_and_b32_e32 v4, v4, v26
	v_and_b32_e32 v5, v5, v27
	v_mul_lo_u32 v5, v5, 24
	v_mul_hi_u32 v24, v4, 24
	v_mul_lo_u32 v4, v4, 24
	v_add_u32_e32 v5, v24, v5
	s_waitcnt vmcnt(0)
	v_add_co_u32_e32 v4, vcc, v8, v4
	v_addc_co_u32_e32 v5, vcc, v9, v5, vcc
	global_load_dwordx2 v[24:25], v[4:5], off glc
	s_waitcnt vmcnt(0)
	global_atomic_cmpswap_x2 v[4:5], v28, v[24:27], s[36:37] offset:24 glc
	s_waitcnt vmcnt(0)
	buffer_wbinvl1_vol
	v_cmp_ne_u64_e32 vcc, v[4:5], v[26:27]
	s_and_saveexec_b64 s[22:23], vcc
	s_cbranch_execz .LBB3_347
; %bb.344:                              ;   in Loop: Header=BB3_287 Depth=1
	s_mov_b64 s[24:25], 0
.LBB3_345:                              ;   Parent Loop BB3_287 Depth=1
                                        ; =>  This Inner Loop Header: Depth=2
	s_sleep 1
	global_load_dwordx2 v[8:9], v28, s[36:37] offset:40
	global_load_dwordx2 v[24:25], v28, s[36:37]
	v_mov_b32_e32 v27, v5
	v_mov_b32_e32 v26, v4
	s_waitcnt vmcnt(1)
	v_and_b32_e32 v4, v8, v26
	s_waitcnt vmcnt(0)
	v_mad_u64_u32 v[4:5], s[26:27], v4, 24, v[24:25]
	v_and_b32_e32 v8, v9, v27
	v_mad_u64_u32 v[8:9], s[26:27], v8, 24, v[5:6]
	v_mov_b32_e32 v5, v8
	global_load_dwordx2 v[24:25], v[4:5], off glc
	s_waitcnt vmcnt(0)
	global_atomic_cmpswap_x2 v[4:5], v28, v[24:27], s[36:37] offset:24 glc
	s_waitcnt vmcnt(0)
	buffer_wbinvl1_vol
	v_cmp_eq_u64_e32 vcc, v[4:5], v[26:27]
	s_or_b64 s[24:25], vcc, s[24:25]
	s_andn2_b64 exec, exec, s[24:25]
	s_cbranch_execnz .LBB3_345
; %bb.346:                              ;   in Loop: Header=BB3_287 Depth=1
	s_or_b64 exec, exec, s[24:25]
.LBB3_347:                              ;   in Loop: Header=BB3_287 Depth=1
	s_or_b64 exec, exec, s[22:23]
.LBB3_348:                              ;   in Loop: Header=BB3_287 Depth=1
	s_or_b64 exec, exec, s[20:21]
	global_load_dwordx2 v[8:9], v28, s[36:37] offset:40
	global_load_dwordx4 v[24:27], v28, s[36:37]
	v_readfirstlane_b32 s20, v4
	v_readfirstlane_b32 s21, v5
	s_mov_b64 s[22:23], exec
	s_waitcnt vmcnt(1)
	v_readfirstlane_b32 s24, v8
	v_readfirstlane_b32 s25, v9
	s_and_b64 s[24:25], s[20:21], s[24:25]
	s_mul_i32 s15, s25, 24
	s_mul_hi_u32 s26, s24, 24
	s_mul_i32 s27, s24, 24
	s_add_i32 s15, s26, s15
	v_mov_b32_e32 v4, s15
	s_waitcnt vmcnt(0)
	v_add_co_u32_e32 v29, vcc, s27, v24
	v_addc_co_u32_e32 v30, vcc, v25, v4, vcc
	s_and_saveexec_b64 s[26:27], s[4:5]
	s_cbranch_execz .LBB3_350
; %bb.349:                              ;   in Loop: Header=BB3_287 Depth=1
	v_mov_b32_e32 v4, s22
	v_mov_b32_e32 v5, s23
	global_store_dwordx4 v[29:30], v[4:7], off offset:8
.LBB3_350:                              ;   in Loop: Header=BB3_287 Depth=1
	s_or_b64 exec, exec, s[26:27]
	s_lshl_b64 s[22:23], s[24:25], 12
	v_mov_b32_e32 v4, s23
	v_add_co_u32_e32 v26, vcc, s22, v26
	v_addc_co_u32_e32 v32, vcc, v27, v4, vcc
	v_cmp_gt_u64_e64 vcc, s[16:17], 56
	v_or_b32_e32 v5, v2, v31
	s_lshl_b32 s15, s18, 2
	v_cndmask_b32_e32 v2, v5, v2, vcc
	s_add_i32 s15, s15, 28
	v_or_b32_e32 v4, 0, v3
	s_and_b32 s15, s15, 0x1e0
	v_and_b32_e32 v2, 0xffffff1f, v2
	v_cndmask_b32_e32 v9, v4, v3, vcc
	v_or_b32_e32 v8, s15, v2
	v_readfirstlane_b32 s22, v26
	v_readfirstlane_b32 s23, v32
	s_nop 4
	global_store_dwordx4 v39, v[8:11], s[22:23]
	global_store_dwordx4 v39, v[12:15], s[22:23] offset:16
	global_store_dwordx4 v39, v[16:19], s[22:23] offset:32
	;; [unrolled: 1-line block ×3, first 2 shown]
	s_and_saveexec_b64 s[22:23], s[4:5]
	s_cbranch_execz .LBB3_358
; %bb.351:                              ;   in Loop: Header=BB3_287 Depth=1
	global_load_dwordx2 v[12:13], v28, s[36:37] offset:32 glc
	global_load_dwordx2 v[2:3], v28, s[36:37] offset:40
	v_mov_b32_e32 v10, s20
	v_mov_b32_e32 v11, s21
	s_waitcnt vmcnt(0)
	v_readfirstlane_b32 s24, v2
	v_readfirstlane_b32 s25, v3
	s_and_b64 s[24:25], s[24:25], s[20:21]
	s_mul_i32 s15, s25, 24
	s_mul_hi_u32 s25, s24, 24
	s_mul_i32 s24, s24, 24
	s_add_i32 s15, s25, s15
	v_mov_b32_e32 v2, s15
	v_add_co_u32_e32 v8, vcc, s24, v24
	v_addc_co_u32_e32 v9, vcc, v25, v2, vcc
	global_store_dwordx2 v[8:9], v[12:13], off
	s_waitcnt vmcnt(0)
	global_atomic_cmpswap_x2 v[4:5], v28, v[10:13], s[36:37] offset:32 glc
	s_waitcnt vmcnt(0)
	v_cmp_ne_u64_e32 vcc, v[4:5], v[12:13]
	s_and_saveexec_b64 s[24:25], vcc
	s_cbranch_execz .LBB3_354
; %bb.352:                              ;   in Loop: Header=BB3_287 Depth=1
	s_mov_b64 s[26:27], 0
.LBB3_353:                              ;   Parent Loop BB3_287 Depth=1
                                        ; =>  This Inner Loop Header: Depth=2
	s_sleep 1
	global_store_dwordx2 v[8:9], v[4:5], off
	v_mov_b32_e32 v2, s20
	v_mov_b32_e32 v3, s21
	s_waitcnt vmcnt(0)
	global_atomic_cmpswap_x2 v[2:3], v28, v[2:5], s[36:37] offset:32 glc
	s_waitcnt vmcnt(0)
	v_cmp_eq_u64_e32 vcc, v[2:3], v[4:5]
	v_mov_b32_e32 v5, v3
	s_or_b64 s[26:27], vcc, s[26:27]
	v_mov_b32_e32 v4, v2
	s_andn2_b64 exec, exec, s[26:27]
	s_cbranch_execnz .LBB3_353
.LBB3_354:                              ;   in Loop: Header=BB3_287 Depth=1
	s_or_b64 exec, exec, s[24:25]
	global_load_dwordx2 v[2:3], v28, s[36:37] offset:16
	s_mov_b64 s[26:27], exec
	v_mbcnt_lo_u32_b32 v4, s26, 0
	v_mbcnt_hi_u32_b32 v4, s27, v4
	v_cmp_eq_u32_e32 vcc, 0, v4
	s_and_saveexec_b64 s[24:25], vcc
	s_cbranch_execz .LBB3_356
; %bb.355:                              ;   in Loop: Header=BB3_287 Depth=1
	s_bcnt1_i32_b64 s15, s[26:27]
	v_mov_b32_e32 v27, s15
	s_waitcnt vmcnt(0)
	global_atomic_add_x2 v[2:3], v[27:28], off offset:8
.LBB3_356:                              ;   in Loop: Header=BB3_287 Depth=1
	s_or_b64 exec, exec, s[24:25]
	s_waitcnt vmcnt(0)
	global_load_dwordx2 v[4:5], v[2:3], off offset:16
	s_waitcnt vmcnt(0)
	v_cmp_eq_u64_e32 vcc, 0, v[4:5]
	s_cbranch_vccnz .LBB3_358
; %bb.357:                              ;   in Loop: Header=BB3_287 Depth=1
	global_load_dword v27, v[2:3], off offset:24
	s_waitcnt vmcnt(0)
	v_and_b32_e32 v2, 0xffffff, v27
	v_readfirstlane_b32 m0, v2
	global_store_dwordx2 v[4:5], v[27:28], off
	s_sendmsg sendmsg(MSG_INTERRUPT)
.LBB3_358:                              ;   in Loop: Header=BB3_287 Depth=1
	s_or_b64 exec, exec, s[22:23]
	v_add_co_u32_e32 v2, vcc, v26, v39
	v_addc_co_u32_e32 v3, vcc, 0, v32, vcc
	s_branch .LBB3_362
.LBB3_359:                              ;   in Loop: Header=BB3_362 Depth=2
	s_or_b64 exec, exec, s[22:23]
	v_readfirstlane_b32 s15, v4
	s_cmp_eq_u32 s15, 0
	s_cbranch_scc1 .LBB3_361
; %bb.360:                              ;   in Loop: Header=BB3_362 Depth=2
	s_sleep 1
	s_cbranch_execnz .LBB3_362
	s_branch .LBB3_364
.LBB3_361:                              ;   in Loop: Header=BB3_287 Depth=1
	s_branch .LBB3_364
.LBB3_362:                              ;   Parent Loop BB3_287 Depth=1
                                        ; =>  This Inner Loop Header: Depth=2
	v_mov_b32_e32 v4, 1
	s_and_saveexec_b64 s[22:23], s[4:5]
	s_cbranch_execz .LBB3_359
; %bb.363:                              ;   in Loop: Header=BB3_362 Depth=2
	global_load_dword v4, v[29:30], off offset:20 glc
	s_waitcnt vmcnt(0)
	buffer_wbinvl1_vol
	v_and_b32_e32 v4, 1, v4
	s_branch .LBB3_359
.LBB3_364:                              ;   in Loop: Header=BB3_287 Depth=1
	global_load_dwordx4 v[2:5], v[2:3], off
	s_and_saveexec_b64 s[22:23], s[4:5]
	s_cbranch_execz .LBB3_286
; %bb.365:                              ;   in Loop: Header=BB3_287 Depth=1
	global_load_dwordx2 v[4:5], v28, s[36:37] offset:40
	global_load_dwordx2 v[12:13], v28, s[36:37] offset:24 glc
	global_load_dwordx2 v[14:15], v28, s[36:37]
	v_mov_b32_e32 v9, s21
	s_waitcnt vmcnt(2)
	v_add_co_u32_e32 v10, vcc, 1, v4
	v_addc_co_u32_e32 v11, vcc, 0, v5, vcc
	v_add_co_u32_e32 v8, vcc, s20, v10
	v_addc_co_u32_e32 v9, vcc, v11, v9, vcc
	v_cmp_eq_u64_e32 vcc, 0, v[8:9]
	v_cndmask_b32_e32 v9, v9, v11, vcc
	v_cndmask_b32_e32 v8, v8, v10, vcc
	v_and_b32_e32 v5, v9, v5
	v_and_b32_e32 v4, v8, v4
	v_mul_lo_u32 v5, v5, 24
	v_mul_hi_u32 v11, v4, 24
	v_mul_lo_u32 v4, v4, 24
	s_waitcnt vmcnt(1)
	v_mov_b32_e32 v10, v12
	v_add_u32_e32 v5, v11, v5
	s_waitcnt vmcnt(0)
	v_add_co_u32_e32 v4, vcc, v14, v4
	v_addc_co_u32_e32 v5, vcc, v15, v5, vcc
	global_store_dwordx2 v[4:5], v[12:13], off
	v_mov_b32_e32 v11, v13
	s_waitcnt vmcnt(0)
	global_atomic_cmpswap_x2 v[10:11], v28, v[8:11], s[36:37] offset:24 glc
	s_waitcnt vmcnt(0)
	v_cmp_ne_u64_e32 vcc, v[10:11], v[12:13]
	s_and_b64 exec, exec, vcc
	s_cbranch_execz .LBB3_286
; %bb.366:                              ;   in Loop: Header=BB3_287 Depth=1
	s_mov_b64 s[4:5], 0
.LBB3_367:                              ;   Parent Loop BB3_287 Depth=1
                                        ; =>  This Inner Loop Header: Depth=2
	s_sleep 1
	global_store_dwordx2 v[4:5], v[10:11], off
	s_waitcnt vmcnt(0)
	global_atomic_cmpswap_x2 v[12:13], v28, v[8:11], s[36:37] offset:24 glc
	s_waitcnt vmcnt(0)
	v_cmp_eq_u64_e32 vcc, v[12:13], v[10:11]
	v_mov_b32_e32 v10, v12
	s_or_b64 s[4:5], vcc, s[4:5]
	v_mov_b32_e32 v11, v13
	s_andn2_b64 exec, exec, s[4:5]
	s_cbranch_execnz .LBB3_367
	s_branch .LBB3_286
.LBB3_368:
	s_branch .LBB3_396
.LBB3_369:
                                        ; implicit-def: $vgpr2_vgpr3
	s_cbranch_execz .LBB3_396
; %bb.370:
	v_readfirstlane_b32 s4, v50
	v_mov_b32_e32 v8, 0
	v_mov_b32_e32 v9, 0
	v_cmp_eq_u32_e64 s[4:5], s4, v50
	s_and_saveexec_b64 s[10:11], s[4:5]
	s_cbranch_execz .LBB3_376
; %bb.371:
	s_waitcnt vmcnt(0)
	v_mov_b32_e32 v2, 0
	global_load_dwordx2 v[5:6], v2, s[36:37] offset:24 glc
	s_waitcnt vmcnt(0)
	buffer_wbinvl1_vol
	global_load_dwordx2 v[3:4], v2, s[36:37] offset:40
	global_load_dwordx2 v[7:8], v2, s[36:37]
	s_waitcnt vmcnt(1)
	v_and_b32_e32 v3, v3, v5
	v_and_b32_e32 v4, v4, v6
	v_mul_lo_u32 v4, v4, 24
	v_mul_hi_u32 v9, v3, 24
	v_mul_lo_u32 v3, v3, 24
	v_add_u32_e32 v4, v9, v4
	s_waitcnt vmcnt(0)
	v_add_co_u32_e32 v3, vcc, v7, v3
	v_addc_co_u32_e32 v4, vcc, v8, v4, vcc
	global_load_dwordx2 v[3:4], v[3:4], off glc
	s_waitcnt vmcnt(0)
	global_atomic_cmpswap_x2 v[8:9], v2, v[3:6], s[36:37] offset:24 glc
	s_waitcnt vmcnt(0)
	buffer_wbinvl1_vol
	v_cmp_ne_u64_e32 vcc, v[8:9], v[5:6]
	s_and_saveexec_b64 s[16:17], vcc
	s_cbranch_execz .LBB3_375
; %bb.372:
	s_mov_b64 s[18:19], 0
.LBB3_373:                              ; =>This Inner Loop Header: Depth=1
	s_sleep 1
	global_load_dwordx2 v[3:4], v2, s[36:37] offset:40
	global_load_dwordx2 v[10:11], v2, s[36:37]
	v_mov_b32_e32 v5, v8
	v_mov_b32_e32 v6, v9
	s_waitcnt vmcnt(1)
	v_and_b32_e32 v3, v3, v5
	s_waitcnt vmcnt(0)
	v_mad_u64_u32 v[7:8], s[20:21], v3, 24, v[10:11]
	v_and_b32_e32 v4, v4, v6
	v_mov_b32_e32 v3, v8
	v_mad_u64_u32 v[3:4], s[20:21], v4, 24, v[3:4]
	v_mov_b32_e32 v8, v3
	global_load_dwordx2 v[3:4], v[7:8], off glc
	s_waitcnt vmcnt(0)
	global_atomic_cmpswap_x2 v[8:9], v2, v[3:6], s[36:37] offset:24 glc
	s_waitcnt vmcnt(0)
	buffer_wbinvl1_vol
	v_cmp_eq_u64_e32 vcc, v[8:9], v[5:6]
	s_or_b64 s[18:19], vcc, s[18:19]
	s_andn2_b64 exec, exec, s[18:19]
	s_cbranch_execnz .LBB3_373
; %bb.374:
	s_or_b64 exec, exec, s[18:19]
.LBB3_375:
	s_or_b64 exec, exec, s[16:17]
.LBB3_376:
	s_or_b64 exec, exec, s[10:11]
	s_waitcnt vmcnt(0)
	v_mov_b32_e32 v2, 0
	global_load_dwordx2 v[10:11], v2, s[36:37] offset:40
	global_load_dwordx4 v[4:7], v2, s[36:37]
	v_readfirstlane_b32 s10, v8
	v_readfirstlane_b32 s11, v9
	s_mov_b64 s[16:17], exec
	s_waitcnt vmcnt(1)
	v_readfirstlane_b32 s18, v10
	v_readfirstlane_b32 s19, v11
	s_and_b64 s[18:19], s[10:11], s[18:19]
	s_mul_i32 s15, s19, 24
	s_mul_hi_u32 s20, s18, 24
	s_mul_i32 s21, s18, 24
	s_add_i32 s15, s20, s15
	v_mov_b32_e32 v3, s15
	s_waitcnt vmcnt(0)
	v_add_co_u32_e32 v8, vcc, s21, v4
	v_addc_co_u32_e32 v9, vcc, v5, v3, vcc
	s_and_saveexec_b64 s[20:21], s[4:5]
	s_cbranch_execz .LBB3_378
; %bb.377:
	v_mov_b32_e32 v10, s16
	v_mov_b32_e32 v11, s17
	;; [unrolled: 1-line block ×4, first 2 shown]
	global_store_dwordx4 v[8:9], v[10:13], off offset:8
.LBB3_378:
	s_or_b64 exec, exec, s[20:21]
	s_lshl_b64 s[16:17], s[18:19], 12
	v_mov_b32_e32 v3, s17
	v_add_co_u32_e32 v10, vcc, s16, v6
	v_addc_co_u32_e32 v11, vcc, v7, v3, vcc
	s_movk_i32 s15, 0xff1f
	v_and_or_b32 v0, v0, s15, 32
	s_mov_b32 s16, 0
	v_mov_b32_e32 v3, v2
	v_readfirstlane_b32 s20, v10
	v_readfirstlane_b32 s21, v11
	v_add_co_u32_e32 v6, vcc, v10, v39
	s_mov_b32 s17, s16
	s_mov_b32 s18, s16
	;; [unrolled: 1-line block ×3, first 2 shown]
	s_nop 0
	global_store_dwordx4 v39, v[0:3], s[20:21]
	v_addc_co_u32_e32 v7, vcc, 0, v11, vcc
	v_mov_b32_e32 v0, s16
	v_mov_b32_e32 v1, s17
	;; [unrolled: 1-line block ×4, first 2 shown]
	global_store_dwordx4 v39, v[0:3], s[20:21] offset:16
	global_store_dwordx4 v39, v[0:3], s[20:21] offset:32
	;; [unrolled: 1-line block ×3, first 2 shown]
	s_and_saveexec_b64 s[16:17], s[4:5]
	s_cbranch_execz .LBB3_386
; %bb.379:
	v_mov_b32_e32 v10, 0
	global_load_dwordx2 v[13:14], v10, s[36:37] offset:32 glc
	global_load_dwordx2 v[0:1], v10, s[36:37] offset:40
	v_mov_b32_e32 v11, s10
	v_mov_b32_e32 v12, s11
	s_waitcnt vmcnt(0)
	v_readfirstlane_b32 s18, v0
	v_readfirstlane_b32 s19, v1
	s_and_b64 s[18:19], s[18:19], s[10:11]
	s_mul_i32 s15, s19, 24
	s_mul_hi_u32 s19, s18, 24
	s_mul_i32 s18, s18, 24
	s_add_i32 s15, s19, s15
	v_mov_b32_e32 v0, s15
	v_add_co_u32_e32 v4, vcc, s18, v4
	v_addc_co_u32_e32 v5, vcc, v5, v0, vcc
	global_store_dwordx2 v[4:5], v[13:14], off
	s_waitcnt vmcnt(0)
	global_atomic_cmpswap_x2 v[2:3], v10, v[11:14], s[36:37] offset:32 glc
	s_waitcnt vmcnt(0)
	v_cmp_ne_u64_e32 vcc, v[2:3], v[13:14]
	s_and_saveexec_b64 s[18:19], vcc
	s_cbranch_execz .LBB3_382
; %bb.380:
	s_mov_b64 s[20:21], 0
.LBB3_381:                              ; =>This Inner Loop Header: Depth=1
	s_sleep 1
	global_store_dwordx2 v[4:5], v[2:3], off
	v_mov_b32_e32 v0, s10
	v_mov_b32_e32 v1, s11
	s_waitcnt vmcnt(0)
	global_atomic_cmpswap_x2 v[0:1], v10, v[0:3], s[36:37] offset:32 glc
	s_waitcnt vmcnt(0)
	v_cmp_eq_u64_e32 vcc, v[0:1], v[2:3]
	v_mov_b32_e32 v3, v1
	s_or_b64 s[20:21], vcc, s[20:21]
	v_mov_b32_e32 v2, v0
	s_andn2_b64 exec, exec, s[20:21]
	s_cbranch_execnz .LBB3_381
.LBB3_382:
	s_or_b64 exec, exec, s[18:19]
	v_mov_b32_e32 v3, 0
	global_load_dwordx2 v[0:1], v3, s[36:37] offset:16
	s_mov_b64 s[18:19], exec
	v_mbcnt_lo_u32_b32 v2, s18, 0
	v_mbcnt_hi_u32_b32 v2, s19, v2
	v_cmp_eq_u32_e32 vcc, 0, v2
	s_and_saveexec_b64 s[20:21], vcc
	s_cbranch_execz .LBB3_384
; %bb.383:
	s_bcnt1_i32_b64 s15, s[18:19]
	v_mov_b32_e32 v2, s15
	s_waitcnt vmcnt(0)
	global_atomic_add_x2 v[0:1], v[2:3], off offset:8
.LBB3_384:
	s_or_b64 exec, exec, s[20:21]
	s_waitcnt vmcnt(0)
	global_load_dwordx2 v[2:3], v[0:1], off offset:16
	s_waitcnt vmcnt(0)
	v_cmp_eq_u64_e32 vcc, 0, v[2:3]
	s_cbranch_vccnz .LBB3_386
; %bb.385:
	global_load_dword v0, v[0:1], off offset:24
	v_mov_b32_e32 v1, 0
	s_waitcnt vmcnt(0)
	global_store_dwordx2 v[2:3], v[0:1], off
	v_and_b32_e32 v0, 0xffffff, v0
	v_readfirstlane_b32 m0, v0
	s_sendmsg sendmsg(MSG_INTERRUPT)
.LBB3_386:
	s_or_b64 exec, exec, s[16:17]
	s_branch .LBB3_390
.LBB3_387:                              ;   in Loop: Header=BB3_390 Depth=1
	s_or_b64 exec, exec, s[16:17]
	v_readfirstlane_b32 s15, v0
	s_cmp_eq_u32 s15, 0
	s_cbranch_scc1 .LBB3_389
; %bb.388:                              ;   in Loop: Header=BB3_390 Depth=1
	s_sleep 1
	s_cbranch_execnz .LBB3_390
	s_branch .LBB3_392
.LBB3_389:
	s_branch .LBB3_392
.LBB3_390:                              ; =>This Inner Loop Header: Depth=1
	v_mov_b32_e32 v0, 1
	s_and_saveexec_b64 s[16:17], s[4:5]
	s_cbranch_execz .LBB3_387
; %bb.391:                              ;   in Loop: Header=BB3_390 Depth=1
	global_load_dword v0, v[8:9], off offset:20 glc
	s_waitcnt vmcnt(0)
	buffer_wbinvl1_vol
	v_and_b32_e32 v0, 1, v0
	s_branch .LBB3_387
.LBB3_392:
	global_load_dwordx2 v[2:3], v[6:7], off
	s_and_saveexec_b64 s[16:17], s[4:5]
	s_cbranch_execz .LBB3_395
; %bb.393:
	v_mov_b32_e32 v8, 0
	global_load_dwordx2 v[0:1], v8, s[36:37] offset:40
	global_load_dwordx2 v[9:10], v8, s[36:37] offset:24 glc
	global_load_dwordx2 v[11:12], v8, s[36:37]
	v_mov_b32_e32 v5, s11
	s_mov_b64 s[4:5], 0
	s_waitcnt vmcnt(2)
	v_add_co_u32_e32 v6, vcc, 1, v0
	v_addc_co_u32_e32 v7, vcc, 0, v1, vcc
	v_add_co_u32_e32 v4, vcc, s10, v6
	v_addc_co_u32_e32 v5, vcc, v7, v5, vcc
	v_cmp_eq_u64_e32 vcc, 0, v[4:5]
	v_cndmask_b32_e32 v5, v5, v7, vcc
	v_cndmask_b32_e32 v4, v4, v6, vcc
	v_and_b32_e32 v1, v5, v1
	v_and_b32_e32 v0, v4, v0
	v_mul_lo_u32 v1, v1, 24
	v_mul_hi_u32 v7, v0, 24
	v_mul_lo_u32 v0, v0, 24
	s_waitcnt vmcnt(1)
	v_mov_b32_e32 v6, v9
	v_add_u32_e32 v1, v7, v1
	s_waitcnt vmcnt(0)
	v_add_co_u32_e32 v0, vcc, v11, v0
	v_addc_co_u32_e32 v1, vcc, v12, v1, vcc
	global_store_dwordx2 v[0:1], v[9:10], off
	v_mov_b32_e32 v7, v10
	s_waitcnt vmcnt(0)
	global_atomic_cmpswap_x2 v[6:7], v8, v[4:7], s[36:37] offset:24 glc
	s_waitcnt vmcnt(0)
	v_cmp_ne_u64_e32 vcc, v[6:7], v[9:10]
	s_and_b64 exec, exec, vcc
	s_cbranch_execz .LBB3_395
.LBB3_394:                              ; =>This Inner Loop Header: Depth=1
	s_sleep 1
	global_store_dwordx2 v[0:1], v[6:7], off
	s_waitcnt vmcnt(0)
	global_atomic_cmpswap_x2 v[9:10], v8, v[4:7], s[36:37] offset:24 glc
	s_waitcnt vmcnt(0)
	v_cmp_eq_u64_e32 vcc, v[9:10], v[6:7]
	v_mov_b32_e32 v6, v9
	s_or_b64 s[4:5], vcc, s[4:5]
	v_mov_b32_e32 v7, v10
	s_andn2_b64 exec, exec, s[4:5]
	s_cbranch_execnz .LBB3_394
.LBB3_395:
	s_or_b64 exec, exec, s[16:17]
.LBB3_396:
	v_readfirstlane_b32 s4, v50
	s_waitcnt vmcnt(0)
	v_mov_b32_e32 v0, 0
	v_mov_b32_e32 v1, 0
	v_cmp_eq_u32_e64 s[4:5], s4, v50
	s_and_saveexec_b64 s[10:11], s[4:5]
	s_cbranch_execz .LBB3_402
; %bb.397:
	v_mov_b32_e32 v4, 0
	global_load_dwordx2 v[7:8], v4, s[36:37] offset:24 glc
	s_waitcnt vmcnt(0)
	buffer_wbinvl1_vol
	global_load_dwordx2 v[0:1], v4, s[36:37] offset:40
	global_load_dwordx2 v[5:6], v4, s[36:37]
	s_waitcnt vmcnt(1)
	v_and_b32_e32 v0, v0, v7
	v_and_b32_e32 v1, v1, v8
	v_mul_lo_u32 v1, v1, 24
	v_mul_hi_u32 v9, v0, 24
	v_mul_lo_u32 v0, v0, 24
	v_add_u32_e32 v1, v9, v1
	s_waitcnt vmcnt(0)
	v_add_co_u32_e32 v0, vcc, v5, v0
	v_addc_co_u32_e32 v1, vcc, v6, v1, vcc
	global_load_dwordx2 v[5:6], v[0:1], off glc
	s_waitcnt vmcnt(0)
	global_atomic_cmpswap_x2 v[0:1], v4, v[5:8], s[36:37] offset:24 glc
	s_waitcnt vmcnt(0)
	buffer_wbinvl1_vol
	v_cmp_ne_u64_e32 vcc, v[0:1], v[7:8]
	s_and_saveexec_b64 s[16:17], vcc
	s_cbranch_execz .LBB3_401
; %bb.398:
	s_mov_b64 s[18:19], 0
.LBB3_399:                              ; =>This Inner Loop Header: Depth=1
	s_sleep 1
	global_load_dwordx2 v[5:6], v4, s[36:37] offset:40
	global_load_dwordx2 v[9:10], v4, s[36:37]
	v_mov_b32_e32 v8, v1
	v_mov_b32_e32 v7, v0
	s_waitcnt vmcnt(1)
	v_and_b32_e32 v0, v5, v7
	s_waitcnt vmcnt(0)
	v_mad_u64_u32 v[0:1], s[20:21], v0, 24, v[9:10]
	v_and_b32_e32 v5, v6, v8
	v_mad_u64_u32 v[5:6], s[20:21], v5, 24, v[1:2]
	v_mov_b32_e32 v1, v5
	global_load_dwordx2 v[5:6], v[0:1], off glc
	s_waitcnt vmcnt(0)
	global_atomic_cmpswap_x2 v[0:1], v4, v[5:8], s[36:37] offset:24 glc
	s_waitcnt vmcnt(0)
	buffer_wbinvl1_vol
	v_cmp_eq_u64_e32 vcc, v[0:1], v[7:8]
	s_or_b64 s[18:19], vcc, s[18:19]
	s_andn2_b64 exec, exec, s[18:19]
	s_cbranch_execnz .LBB3_399
; %bb.400:
	s_or_b64 exec, exec, s[18:19]
.LBB3_401:
	s_or_b64 exec, exec, s[16:17]
.LBB3_402:
	s_or_b64 exec, exec, s[10:11]
	v_mov_b32_e32 v5, 0
	global_load_dwordx2 v[10:11], v5, s[36:37] offset:40
	global_load_dwordx4 v[6:9], v5, s[36:37]
	v_readfirstlane_b32 s10, v0
	v_readfirstlane_b32 s11, v1
	s_mov_b64 s[16:17], exec
	s_waitcnt vmcnt(1)
	v_readfirstlane_b32 s18, v10
	v_readfirstlane_b32 s19, v11
	s_and_b64 s[18:19], s[10:11], s[18:19]
	s_mul_i32 s15, s19, 24
	s_mul_hi_u32 s20, s18, 24
	s_mul_i32 s21, s18, 24
	s_add_i32 s15, s20, s15
	v_mov_b32_e32 v0, s15
	s_waitcnt vmcnt(0)
	v_add_co_u32_e32 v10, vcc, s21, v6
	v_addc_co_u32_e32 v11, vcc, v7, v0, vcc
	s_and_saveexec_b64 s[20:21], s[4:5]
	s_cbranch_execz .LBB3_404
; %bb.403:
	v_mov_b32_e32 v12, s16
	v_mov_b32_e32 v13, s17
	;; [unrolled: 1-line block ×4, first 2 shown]
	global_store_dwordx4 v[10:11], v[12:15], off offset:8
.LBB3_404:
	s_or_b64 exec, exec, s[20:21]
	s_lshl_b64 s[16:17], s[18:19], 12
	v_mov_b32_e32 v0, s17
	v_add_co_u32_e32 v1, vcc, s16, v8
	v_addc_co_u32_e32 v0, vcc, v9, v0, vcc
	s_movk_i32 s15, 0xff1d
	v_and_or_b32 v2, v2, s15, 34
	s_mov_b32 s16, 0
	v_mov_b32_e32 v4, 10
	v_readfirstlane_b32 s20, v1
	v_readfirstlane_b32 s21, v0
	s_mov_b32 s17, s16
	s_mov_b32 s18, s16
	;; [unrolled: 1-line block ×3, first 2 shown]
	s_nop 1
	global_store_dwordx4 v39, v[2:5], s[20:21]
	v_mov_b32_e32 v0, s16
	v_mov_b32_e32 v1, s17
	;; [unrolled: 1-line block ×4, first 2 shown]
	global_store_dwordx4 v39, v[0:3], s[20:21] offset:16
	global_store_dwordx4 v39, v[0:3], s[20:21] offset:32
	;; [unrolled: 1-line block ×3, first 2 shown]
	s_and_saveexec_b64 s[16:17], s[4:5]
	s_cbranch_execz .LBB3_412
; %bb.405:
	v_mov_b32_e32 v8, 0
	global_load_dwordx2 v[14:15], v8, s[36:37] offset:32 glc
	global_load_dwordx2 v[0:1], v8, s[36:37] offset:40
	v_mov_b32_e32 v12, s10
	v_mov_b32_e32 v13, s11
	s_waitcnt vmcnt(0)
	v_readfirstlane_b32 s18, v0
	v_readfirstlane_b32 s19, v1
	s_and_b64 s[18:19], s[18:19], s[10:11]
	s_mul_i32 s15, s19, 24
	s_mul_hi_u32 s19, s18, 24
	s_mul_i32 s18, s18, 24
	s_add_i32 s15, s19, s15
	v_mov_b32_e32 v0, s15
	v_add_co_u32_e32 v4, vcc, s18, v6
	v_addc_co_u32_e32 v5, vcc, v7, v0, vcc
	global_store_dwordx2 v[4:5], v[14:15], off
	s_waitcnt vmcnt(0)
	global_atomic_cmpswap_x2 v[2:3], v8, v[12:15], s[36:37] offset:32 glc
	s_waitcnt vmcnt(0)
	v_cmp_ne_u64_e32 vcc, v[2:3], v[14:15]
	s_and_saveexec_b64 s[18:19], vcc
	s_cbranch_execz .LBB3_408
; %bb.406:
	s_mov_b64 s[20:21], 0
.LBB3_407:                              ; =>This Inner Loop Header: Depth=1
	s_sleep 1
	global_store_dwordx2 v[4:5], v[2:3], off
	v_mov_b32_e32 v0, s10
	v_mov_b32_e32 v1, s11
	s_waitcnt vmcnt(0)
	global_atomic_cmpswap_x2 v[0:1], v8, v[0:3], s[36:37] offset:32 glc
	s_waitcnt vmcnt(0)
	v_cmp_eq_u64_e32 vcc, v[0:1], v[2:3]
	v_mov_b32_e32 v3, v1
	s_or_b64 s[20:21], vcc, s[20:21]
	v_mov_b32_e32 v2, v0
	s_andn2_b64 exec, exec, s[20:21]
	s_cbranch_execnz .LBB3_407
.LBB3_408:
	s_or_b64 exec, exec, s[18:19]
	v_mov_b32_e32 v3, 0
	global_load_dwordx2 v[0:1], v3, s[36:37] offset:16
	s_mov_b64 s[18:19], exec
	v_mbcnt_lo_u32_b32 v2, s18, 0
	v_mbcnt_hi_u32_b32 v2, s19, v2
	v_cmp_eq_u32_e32 vcc, 0, v2
	s_and_saveexec_b64 s[20:21], vcc
	s_cbranch_execz .LBB3_410
; %bb.409:
	s_bcnt1_i32_b64 s15, s[18:19]
	v_mov_b32_e32 v2, s15
	s_waitcnt vmcnt(0)
	global_atomic_add_x2 v[0:1], v[2:3], off offset:8
.LBB3_410:
	s_or_b64 exec, exec, s[20:21]
	s_waitcnt vmcnt(0)
	global_load_dwordx2 v[2:3], v[0:1], off offset:16
	s_waitcnt vmcnt(0)
	v_cmp_eq_u64_e32 vcc, 0, v[2:3]
	s_cbranch_vccnz .LBB3_412
; %bb.411:
	global_load_dword v0, v[0:1], off offset:24
	v_mov_b32_e32 v1, 0
	s_waitcnt vmcnt(0)
	global_store_dwordx2 v[2:3], v[0:1], off
	v_and_b32_e32 v0, 0xffffff, v0
	v_readfirstlane_b32 m0, v0
	s_sendmsg sendmsg(MSG_INTERRUPT)
.LBB3_412:
	s_or_b64 exec, exec, s[16:17]
	s_branch .LBB3_416
.LBB3_413:                              ;   in Loop: Header=BB3_416 Depth=1
	s_or_b64 exec, exec, s[16:17]
	v_readfirstlane_b32 s15, v0
	s_cmp_eq_u32 s15, 0
	s_cbranch_scc1 .LBB3_415
; %bb.414:                              ;   in Loop: Header=BB3_416 Depth=1
	s_sleep 1
	s_cbranch_execnz .LBB3_416
	s_branch .LBB3_418
.LBB3_415:
	s_branch .LBB3_418
.LBB3_416:                              ; =>This Inner Loop Header: Depth=1
	v_mov_b32_e32 v0, 1
	s_and_saveexec_b64 s[16:17], s[4:5]
	s_cbranch_execz .LBB3_413
; %bb.417:                              ;   in Loop: Header=BB3_416 Depth=1
	global_load_dword v0, v[10:11], off offset:20 glc
	s_waitcnt vmcnt(0)
	buffer_wbinvl1_vol
	v_and_b32_e32 v0, 1, v0
	s_branch .LBB3_413
.LBB3_418:
	s_and_saveexec_b64 s[16:17], s[4:5]
	s_cbranch_execz .LBB3_421
; %bb.419:
	v_mov_b32_e32 v6, 0
	global_load_dwordx2 v[2:3], v6, s[36:37] offset:40
	global_load_dwordx2 v[7:8], v6, s[36:37] offset:24 glc
	global_load_dwordx2 v[4:5], v6, s[36:37]
	v_mov_b32_e32 v1, s11
	s_mov_b64 s[4:5], 0
	s_waitcnt vmcnt(2)
	v_add_co_u32_e32 v9, vcc, 1, v2
	v_addc_co_u32_e32 v10, vcc, 0, v3, vcc
	v_add_co_u32_e32 v0, vcc, s10, v9
	v_addc_co_u32_e32 v1, vcc, v10, v1, vcc
	v_cmp_eq_u64_e32 vcc, 0, v[0:1]
	v_cndmask_b32_e32 v1, v1, v10, vcc
	v_cndmask_b32_e32 v0, v0, v9, vcc
	v_and_b32_e32 v3, v1, v3
	v_and_b32_e32 v2, v0, v2
	v_mul_lo_u32 v3, v3, 24
	v_mul_hi_u32 v9, v2, 24
	v_mul_lo_u32 v10, v2, 24
	s_waitcnt vmcnt(1)
	v_mov_b32_e32 v2, v7
	v_add_u32_e32 v3, v9, v3
	s_waitcnt vmcnt(0)
	v_add_co_u32_e32 v4, vcc, v4, v10
	v_addc_co_u32_e32 v5, vcc, v5, v3, vcc
	global_store_dwordx2 v[4:5], v[7:8], off
	v_mov_b32_e32 v3, v8
	s_waitcnt vmcnt(0)
	global_atomic_cmpswap_x2 v[2:3], v6, v[0:3], s[36:37] offset:24 glc
	s_waitcnt vmcnt(0)
	v_cmp_ne_u64_e32 vcc, v[2:3], v[7:8]
	s_and_b64 exec, exec, vcc
	s_cbranch_execz .LBB3_421
.LBB3_420:                              ; =>This Inner Loop Header: Depth=1
	s_sleep 1
	global_store_dwordx2 v[4:5], v[2:3], off
	s_waitcnt vmcnt(0)
	global_atomic_cmpswap_x2 v[7:8], v6, v[0:3], s[36:37] offset:24 glc
	s_waitcnt vmcnt(0)
	v_cmp_eq_u64_e32 vcc, v[7:8], v[2:3]
	v_mov_b32_e32 v2, v7
	s_or_b64 s[4:5], vcc, s[4:5]
	v_mov_b32_e32 v3, v8
	s_andn2_b64 exec, exec, s[4:5]
	s_cbranch_execnz .LBB3_420
.LBB3_421:
	s_or_b64 exec, exec, s[16:17]
	v_readfirstlane_b32 s4, v50
	v_mov_b32_e32 v5, 0
	v_mov_b32_e32 v6, 0
	v_cmp_eq_u32_e64 s[4:5], s4, v50
	s_and_saveexec_b64 s[10:11], s[4:5]
	s_cbranch_execz .LBB3_427
; %bb.422:
	v_mov_b32_e32 v0, 0
	global_load_dwordx2 v[3:4], v0, s[36:37] offset:24 glc
	s_waitcnt vmcnt(0)
	buffer_wbinvl1_vol
	global_load_dwordx2 v[1:2], v0, s[36:37] offset:40
	global_load_dwordx2 v[5:6], v0, s[36:37]
	s_waitcnt vmcnt(1)
	v_and_b32_e32 v1, v1, v3
	v_and_b32_e32 v2, v2, v4
	v_mul_lo_u32 v2, v2, 24
	v_mul_hi_u32 v7, v1, 24
	v_mul_lo_u32 v1, v1, 24
	v_add_u32_e32 v2, v7, v2
	s_waitcnt vmcnt(0)
	v_add_co_u32_e32 v1, vcc, v5, v1
	v_addc_co_u32_e32 v2, vcc, v6, v2, vcc
	global_load_dwordx2 v[1:2], v[1:2], off glc
	s_waitcnt vmcnt(0)
	global_atomic_cmpswap_x2 v[5:6], v0, v[1:4], s[36:37] offset:24 glc
	s_waitcnt vmcnt(0)
	buffer_wbinvl1_vol
	v_cmp_ne_u64_e32 vcc, v[5:6], v[3:4]
	s_and_saveexec_b64 s[16:17], vcc
	s_cbranch_execz .LBB3_426
; %bb.423:
	s_mov_b64 s[18:19], 0
.LBB3_424:                              ; =>This Inner Loop Header: Depth=1
	s_sleep 1
	global_load_dwordx2 v[1:2], v0, s[36:37] offset:40
	global_load_dwordx2 v[7:8], v0, s[36:37]
	v_mov_b32_e32 v3, v5
	v_mov_b32_e32 v4, v6
	s_waitcnt vmcnt(1)
	v_and_b32_e32 v1, v1, v3
	s_waitcnt vmcnt(0)
	v_mad_u64_u32 v[5:6], s[20:21], v1, 24, v[7:8]
	v_and_b32_e32 v2, v2, v4
	v_mov_b32_e32 v1, v6
	v_mad_u64_u32 v[1:2], s[20:21], v2, 24, v[1:2]
	v_mov_b32_e32 v6, v1
	global_load_dwordx2 v[1:2], v[5:6], off glc
	s_waitcnt vmcnt(0)
	global_atomic_cmpswap_x2 v[5:6], v0, v[1:4], s[36:37] offset:24 glc
	s_waitcnt vmcnt(0)
	buffer_wbinvl1_vol
	v_cmp_eq_u64_e32 vcc, v[5:6], v[3:4]
	s_or_b64 s[18:19], vcc, s[18:19]
	s_andn2_b64 exec, exec, s[18:19]
	s_cbranch_execnz .LBB3_424
; %bb.425:
	s_or_b64 exec, exec, s[18:19]
.LBB3_426:
	s_or_b64 exec, exec, s[16:17]
.LBB3_427:
	s_or_b64 exec, exec, s[10:11]
	v_mov_b32_e32 v4, 0
	global_load_dwordx2 v[7:8], v4, s[36:37] offset:40
	global_load_dwordx4 v[0:3], v4, s[36:37]
	v_readfirstlane_b32 s10, v5
	v_readfirstlane_b32 s11, v6
	s_mov_b64 s[16:17], exec
	s_waitcnt vmcnt(1)
	v_readfirstlane_b32 s18, v7
	v_readfirstlane_b32 s19, v8
	s_and_b64 s[18:19], s[10:11], s[18:19]
	s_mul_i32 s15, s19, 24
	s_mul_hi_u32 s20, s18, 24
	s_mul_i32 s21, s18, 24
	s_add_i32 s15, s20, s15
	v_mov_b32_e32 v5, s15
	s_waitcnt vmcnt(0)
	v_add_co_u32_e32 v7, vcc, s21, v0
	v_addc_co_u32_e32 v8, vcc, v1, v5, vcc
	s_and_saveexec_b64 s[20:21], s[4:5]
	s_cbranch_execz .LBB3_429
; %bb.428:
	v_mov_b32_e32 v9, s16
	v_mov_b32_e32 v10, s17
	;; [unrolled: 1-line block ×4, first 2 shown]
	global_store_dwordx4 v[7:8], v[9:12], off offset:8
.LBB3_429:
	s_or_b64 exec, exec, s[20:21]
	s_lshl_b64 s[16:17], s[18:19], 12
	v_mov_b32_e32 v5, s17
	v_add_co_u32_e32 v2, vcc, s16, v2
	v_addc_co_u32_e32 v11, vcc, v3, v5, vcc
	s_mov_b32 s16, 0
	v_mov_b32_e32 v3, 33
	v_mov_b32_e32 v5, v4
	;; [unrolled: 1-line block ×3, first 2 shown]
	v_readfirstlane_b32 s20, v2
	v_readfirstlane_b32 s21, v11
	v_add_co_u32_e32 v9, vcc, v2, v39
	s_mov_b32 s17, s16
	s_mov_b32 s18, s16
	;; [unrolled: 1-line block ×3, first 2 shown]
	s_nop 0
	global_store_dwordx4 v39, v[3:6], s[20:21]
	v_mov_b32_e32 v2, s16
	v_addc_co_u32_e32 v10, vcc, 0, v11, vcc
	v_mov_b32_e32 v3, s17
	v_mov_b32_e32 v4, s18
	;; [unrolled: 1-line block ×3, first 2 shown]
	global_store_dwordx4 v39, v[2:5], s[20:21] offset:16
	global_store_dwordx4 v39, v[2:5], s[20:21] offset:32
	;; [unrolled: 1-line block ×3, first 2 shown]
	s_and_saveexec_b64 s[16:17], s[4:5]
	s_cbranch_execz .LBB3_437
; %bb.430:
	v_mov_b32_e32 v6, 0
	global_load_dwordx2 v[13:14], v6, s[36:37] offset:32 glc
	global_load_dwordx2 v[2:3], v6, s[36:37] offset:40
	v_mov_b32_e32 v11, s10
	v_mov_b32_e32 v12, s11
	s_waitcnt vmcnt(0)
	v_readfirstlane_b32 s18, v2
	v_readfirstlane_b32 s19, v3
	s_and_b64 s[18:19], s[18:19], s[10:11]
	s_mul_i32 s15, s19, 24
	s_mul_hi_u32 s19, s18, 24
	s_mul_i32 s18, s18, 24
	s_add_i32 s15, s19, s15
	v_mov_b32_e32 v2, s15
	v_add_co_u32_e32 v4, vcc, s18, v0
	v_addc_co_u32_e32 v5, vcc, v1, v2, vcc
	global_store_dwordx2 v[4:5], v[13:14], off
	s_waitcnt vmcnt(0)
	global_atomic_cmpswap_x2 v[2:3], v6, v[11:14], s[36:37] offset:32 glc
	s_waitcnt vmcnt(0)
	v_cmp_ne_u64_e32 vcc, v[2:3], v[13:14]
	s_and_saveexec_b64 s[18:19], vcc
	s_cbranch_execz .LBB3_433
; %bb.431:
	s_mov_b64 s[20:21], 0
.LBB3_432:                              ; =>This Inner Loop Header: Depth=1
	s_sleep 1
	global_store_dwordx2 v[4:5], v[2:3], off
	v_mov_b32_e32 v0, s10
	v_mov_b32_e32 v1, s11
	s_waitcnt vmcnt(0)
	global_atomic_cmpswap_x2 v[0:1], v6, v[0:3], s[36:37] offset:32 glc
	s_waitcnt vmcnt(0)
	v_cmp_eq_u64_e32 vcc, v[0:1], v[2:3]
	v_mov_b32_e32 v3, v1
	s_or_b64 s[20:21], vcc, s[20:21]
	v_mov_b32_e32 v2, v0
	s_andn2_b64 exec, exec, s[20:21]
	s_cbranch_execnz .LBB3_432
.LBB3_433:
	s_or_b64 exec, exec, s[18:19]
	v_mov_b32_e32 v3, 0
	global_load_dwordx2 v[0:1], v3, s[36:37] offset:16
	s_mov_b64 s[18:19], exec
	v_mbcnt_lo_u32_b32 v2, s18, 0
	v_mbcnt_hi_u32_b32 v2, s19, v2
	v_cmp_eq_u32_e32 vcc, 0, v2
	s_and_saveexec_b64 s[20:21], vcc
	s_cbranch_execz .LBB3_435
; %bb.434:
	s_bcnt1_i32_b64 s15, s[18:19]
	v_mov_b32_e32 v2, s15
	s_waitcnt vmcnt(0)
	global_atomic_add_x2 v[0:1], v[2:3], off offset:8
.LBB3_435:
	s_or_b64 exec, exec, s[20:21]
	s_waitcnt vmcnt(0)
	global_load_dwordx2 v[2:3], v[0:1], off offset:16
	s_waitcnt vmcnt(0)
	v_cmp_eq_u64_e32 vcc, 0, v[2:3]
	s_cbranch_vccnz .LBB3_437
; %bb.436:
	global_load_dword v0, v[0:1], off offset:24
	v_mov_b32_e32 v1, 0
	s_waitcnt vmcnt(0)
	global_store_dwordx2 v[2:3], v[0:1], off
	v_and_b32_e32 v0, 0xffffff, v0
	v_readfirstlane_b32 m0, v0
	s_sendmsg sendmsg(MSG_INTERRUPT)
.LBB3_437:
	s_or_b64 exec, exec, s[16:17]
	s_branch .LBB3_441
.LBB3_438:                              ;   in Loop: Header=BB3_441 Depth=1
	s_or_b64 exec, exec, s[16:17]
	v_readfirstlane_b32 s15, v0
	s_cmp_eq_u32 s15, 0
	s_cbranch_scc1 .LBB3_440
; %bb.439:                              ;   in Loop: Header=BB3_441 Depth=1
	s_sleep 1
	s_cbranch_execnz .LBB3_441
	s_branch .LBB3_443
.LBB3_440:
	s_branch .LBB3_443
.LBB3_441:                              ; =>This Inner Loop Header: Depth=1
	v_mov_b32_e32 v0, 1
	s_and_saveexec_b64 s[16:17], s[4:5]
	s_cbranch_execz .LBB3_438
; %bb.442:                              ;   in Loop: Header=BB3_441 Depth=1
	global_load_dword v0, v[7:8], off offset:20 glc
	s_waitcnt vmcnt(0)
	buffer_wbinvl1_vol
	v_and_b32_e32 v0, 1, v0
	s_branch .LBB3_438
.LBB3_443:
	global_load_dwordx2 v[4:5], v[9:10], off
	s_and_saveexec_b64 s[16:17], s[4:5]
	s_cbranch_execz .LBB3_446
; %bb.444:
	v_mov_b32_e32 v8, 0
	global_load_dwordx2 v[2:3], v8, s[36:37] offset:40
	global_load_dwordx2 v[9:10], v8, s[36:37] offset:24 glc
	global_load_dwordx2 v[6:7], v8, s[36:37]
	v_mov_b32_e32 v1, s11
	s_mov_b64 s[4:5], 0
	s_waitcnt vmcnt(2)
	v_add_co_u32_e32 v11, vcc, 1, v2
	v_addc_co_u32_e32 v12, vcc, 0, v3, vcc
	v_add_co_u32_e32 v0, vcc, s10, v11
	v_addc_co_u32_e32 v1, vcc, v12, v1, vcc
	v_cmp_eq_u64_e32 vcc, 0, v[0:1]
	v_cndmask_b32_e32 v1, v1, v12, vcc
	v_cndmask_b32_e32 v0, v0, v11, vcc
	v_and_b32_e32 v3, v1, v3
	v_and_b32_e32 v2, v0, v2
	v_mul_lo_u32 v3, v3, 24
	v_mul_hi_u32 v11, v2, 24
	v_mul_lo_u32 v12, v2, 24
	s_waitcnt vmcnt(1)
	v_mov_b32_e32 v2, v9
	v_add_u32_e32 v3, v11, v3
	s_waitcnt vmcnt(0)
	v_add_co_u32_e32 v6, vcc, v6, v12
	v_addc_co_u32_e32 v7, vcc, v7, v3, vcc
	global_store_dwordx2 v[6:7], v[9:10], off
	v_mov_b32_e32 v3, v10
	s_waitcnt vmcnt(0)
	global_atomic_cmpswap_x2 v[2:3], v8, v[0:3], s[36:37] offset:24 glc
	s_waitcnt vmcnt(0)
	v_cmp_ne_u64_e32 vcc, v[2:3], v[9:10]
	s_and_b64 exec, exec, vcc
	s_cbranch_execz .LBB3_446
.LBB3_445:                              ; =>This Inner Loop Header: Depth=1
	s_sleep 1
	global_store_dwordx2 v[6:7], v[2:3], off
	s_waitcnt vmcnt(0)
	global_atomic_cmpswap_x2 v[9:10], v8, v[0:3], s[36:37] offset:24 glc
	s_waitcnt vmcnt(0)
	v_cmp_eq_u64_e32 vcc, v[9:10], v[2:3]
	v_mov_b32_e32 v2, v9
	s_or_b64 s[4:5], vcc, s[4:5]
	v_mov_b32_e32 v3, v10
	s_andn2_b64 exec, exec, s[4:5]
	s_cbranch_execnz .LBB3_445
.LBB3_446:
	s_or_b64 exec, exec, s[16:17]
	s_and_b64 vcc, exec, s[6:7]
	s_cbranch_vccz .LBB3_531
; %bb.447:
	s_waitcnt vmcnt(0)
	v_and_b32_e32 v29, 2, v4
	v_mov_b32_e32 v26, 0
	v_and_b32_e32 v0, -3, v4
	v_mov_b32_e32 v1, v5
	s_mov_b64 s[16:17], 3
	v_mov_b32_e32 v8, 2
	v_mov_b32_e32 v9, 1
	s_getpc_b64 s[10:11]
	s_add_u32 s10, s10, .str.5@rel32@lo+4
	s_addc_u32 s11, s11, .str.5@rel32@hi+12
	s_branch .LBB3_449
.LBB3_448:                              ;   in Loop: Header=BB3_449 Depth=1
	s_or_b64 exec, exec, s[22:23]
	s_sub_u32 s16, s16, s18
	s_subb_u32 s17, s17, s19
	s_add_u32 s10, s10, s18
	s_addc_u32 s11, s11, s19
	s_cmp_lg_u64 s[16:17], 0
	s_cbranch_scc0 .LBB3_530
.LBB3_449:                              ; =>This Loop Header: Depth=1
                                        ;     Child Loop BB3_452 Depth 2
                                        ;     Child Loop BB3_459 Depth 2
	;; [unrolled: 1-line block ×11, first 2 shown]
	v_cmp_lt_u64_e64 s[4:5], s[16:17], 56
	v_cmp_gt_u64_e64 s[20:21], s[16:17], 7
	s_and_b64 s[4:5], s[4:5], exec
	s_cselect_b32 s19, s17, 0
	s_cselect_b32 s18, s16, 56
	s_and_b64 vcc, exec, s[20:21]
	s_cbranch_vccnz .LBB3_454
; %bb.450:                              ;   in Loop: Header=BB3_449 Depth=1
	s_waitcnt vmcnt(0)
	v_mov_b32_e32 v2, 0
	s_cmp_eq_u64 s[16:17], 0
	v_mov_b32_e32 v3, 0
	s_mov_b64 s[4:5], 0
	s_cbranch_scc1 .LBB3_453
; %bb.451:                              ;   in Loop: Header=BB3_449 Depth=1
	v_mov_b32_e32 v2, 0
	s_lshl_b64 s[20:21], s[18:19], 3
	s_mov_b64 s[22:23], 0
	v_mov_b32_e32 v3, 0
	s_mov_b64 s[24:25], s[10:11]
.LBB3_452:                              ;   Parent Loop BB3_449 Depth=1
                                        ; =>  This Inner Loop Header: Depth=2
	global_load_ubyte v6, v26, s[24:25]
	s_waitcnt vmcnt(0)
	v_and_b32_e32 v25, 0xffff, v6
	v_lshlrev_b64 v[6:7], s22, v[25:26]
	s_add_u32 s22, s22, 8
	s_addc_u32 s23, s23, 0
	s_add_u32 s24, s24, 1
	s_addc_u32 s25, s25, 0
	v_or_b32_e32 v2, v6, v2
	s_cmp_lg_u32 s20, s22
	v_or_b32_e32 v3, v7, v3
	s_cbranch_scc1 .LBB3_452
.LBB3_453:                              ;   in Loop: Header=BB3_449 Depth=1
	s_mov_b32 s15, 0
	s_andn2_b64 vcc, exec, s[4:5]
	s_mov_b64 s[4:5], s[10:11]
	s_cbranch_vccz .LBB3_455
	s_branch .LBB3_456
.LBB3_454:                              ;   in Loop: Header=BB3_449 Depth=1
                                        ; implicit-def: $vgpr2_vgpr3
                                        ; implicit-def: $sgpr15
	s_mov_b64 s[4:5], s[10:11]
.LBB3_455:                              ;   in Loop: Header=BB3_449 Depth=1
	global_load_dwordx2 v[2:3], v26, s[10:11]
	s_add_i32 s15, s18, -8
	s_add_u32 s4, s10, 8
	s_addc_u32 s5, s11, 0
.LBB3_456:                              ;   in Loop: Header=BB3_449 Depth=1
	s_cmp_gt_u32 s15, 7
	s_cbranch_scc1 .LBB3_460
; %bb.457:                              ;   in Loop: Header=BB3_449 Depth=1
	s_cmp_eq_u32 s15, 0
	s_cbranch_scc1 .LBB3_461
; %bb.458:                              ;   in Loop: Header=BB3_449 Depth=1
	v_mov_b32_e32 v10, 0
	s_mov_b64 s[20:21], 0
	v_mov_b32_e32 v11, 0
	s_mov_b64 s[22:23], 0
.LBB3_459:                              ;   Parent Loop BB3_449 Depth=1
                                        ; =>  This Inner Loop Header: Depth=2
	s_add_u32 s24, s4, s22
	s_addc_u32 s25, s5, s23
	global_load_ubyte v6, v26, s[24:25]
	s_add_u32 s22, s22, 1
	s_addc_u32 s23, s23, 0
	s_waitcnt vmcnt(0)
	v_and_b32_e32 v25, 0xffff, v6
	v_lshlrev_b64 v[6:7], s20, v[25:26]
	s_add_u32 s20, s20, 8
	s_addc_u32 s21, s21, 0
	v_or_b32_e32 v10, v6, v10
	s_cmp_lg_u32 s15, s22
	v_or_b32_e32 v11, v7, v11
	s_cbranch_scc1 .LBB3_459
	s_branch .LBB3_462
.LBB3_460:                              ;   in Loop: Header=BB3_449 Depth=1
                                        ; implicit-def: $vgpr10_vgpr11
                                        ; implicit-def: $sgpr24
	s_branch .LBB3_463
.LBB3_461:                              ;   in Loop: Header=BB3_449 Depth=1
	v_mov_b32_e32 v10, 0
	v_mov_b32_e32 v11, 0
.LBB3_462:                              ;   in Loop: Header=BB3_449 Depth=1
	s_mov_b32 s24, 0
	s_cbranch_execnz .LBB3_464
.LBB3_463:                              ;   in Loop: Header=BB3_449 Depth=1
	global_load_dwordx2 v[10:11], v26, s[4:5]
	s_add_i32 s24, s15, -8
	s_add_u32 s4, s4, 8
	s_addc_u32 s5, s5, 0
.LBB3_464:                              ;   in Loop: Header=BB3_449 Depth=1
	s_cmp_gt_u32 s24, 7
	s_cbranch_scc1 .LBB3_468
; %bb.465:                              ;   in Loop: Header=BB3_449 Depth=1
	s_cmp_eq_u32 s24, 0
	s_cbranch_scc1 .LBB3_469
; %bb.466:                              ;   in Loop: Header=BB3_449 Depth=1
	v_mov_b32_e32 v12, 0
	s_mov_b64 s[20:21], 0
	v_mov_b32_e32 v13, 0
	s_mov_b64 s[22:23], 0
.LBB3_467:                              ;   Parent Loop BB3_449 Depth=1
                                        ; =>  This Inner Loop Header: Depth=2
	s_add_u32 s26, s4, s22
	s_addc_u32 s27, s5, s23
	global_load_ubyte v6, v26, s[26:27]
	s_add_u32 s22, s22, 1
	s_addc_u32 s23, s23, 0
	s_waitcnt vmcnt(0)
	v_and_b32_e32 v25, 0xffff, v6
	v_lshlrev_b64 v[6:7], s20, v[25:26]
	s_add_u32 s20, s20, 8
	s_addc_u32 s21, s21, 0
	v_or_b32_e32 v12, v6, v12
	s_cmp_lg_u32 s24, s22
	v_or_b32_e32 v13, v7, v13
	s_cbranch_scc1 .LBB3_467
	s_branch .LBB3_470
.LBB3_468:                              ;   in Loop: Header=BB3_449 Depth=1
                                        ; implicit-def: $sgpr15
	s_branch .LBB3_471
.LBB3_469:                              ;   in Loop: Header=BB3_449 Depth=1
	v_mov_b32_e32 v12, 0
	v_mov_b32_e32 v13, 0
.LBB3_470:                              ;   in Loop: Header=BB3_449 Depth=1
	s_mov_b32 s15, 0
	s_cbranch_execnz .LBB3_472
.LBB3_471:                              ;   in Loop: Header=BB3_449 Depth=1
	global_load_dwordx2 v[12:13], v26, s[4:5]
	s_add_i32 s15, s24, -8
	s_add_u32 s4, s4, 8
	s_addc_u32 s5, s5, 0
.LBB3_472:                              ;   in Loop: Header=BB3_449 Depth=1
	s_cmp_gt_u32 s15, 7
	s_cbranch_scc1 .LBB3_476
; %bb.473:                              ;   in Loop: Header=BB3_449 Depth=1
	s_cmp_eq_u32 s15, 0
	s_cbranch_scc1 .LBB3_477
; %bb.474:                              ;   in Loop: Header=BB3_449 Depth=1
	v_mov_b32_e32 v14, 0
	s_mov_b64 s[20:21], 0
	v_mov_b32_e32 v15, 0
	s_mov_b64 s[22:23], 0
.LBB3_475:                              ;   Parent Loop BB3_449 Depth=1
                                        ; =>  This Inner Loop Header: Depth=2
	s_add_u32 s24, s4, s22
	s_addc_u32 s25, s5, s23
	global_load_ubyte v6, v26, s[24:25]
	s_add_u32 s22, s22, 1
	s_addc_u32 s23, s23, 0
	s_waitcnt vmcnt(0)
	v_and_b32_e32 v25, 0xffff, v6
	v_lshlrev_b64 v[6:7], s20, v[25:26]
	s_add_u32 s20, s20, 8
	s_addc_u32 s21, s21, 0
	v_or_b32_e32 v14, v6, v14
	s_cmp_lg_u32 s15, s22
	v_or_b32_e32 v15, v7, v15
	s_cbranch_scc1 .LBB3_475
	s_branch .LBB3_478
.LBB3_476:                              ;   in Loop: Header=BB3_449 Depth=1
                                        ; implicit-def: $vgpr14_vgpr15
                                        ; implicit-def: $sgpr24
	s_branch .LBB3_479
.LBB3_477:                              ;   in Loop: Header=BB3_449 Depth=1
	v_mov_b32_e32 v14, 0
	v_mov_b32_e32 v15, 0
.LBB3_478:                              ;   in Loop: Header=BB3_449 Depth=1
	s_mov_b32 s24, 0
	s_cbranch_execnz .LBB3_480
.LBB3_479:                              ;   in Loop: Header=BB3_449 Depth=1
	global_load_dwordx2 v[14:15], v26, s[4:5]
	s_add_i32 s24, s15, -8
	s_add_u32 s4, s4, 8
	s_addc_u32 s5, s5, 0
.LBB3_480:                              ;   in Loop: Header=BB3_449 Depth=1
	s_cmp_gt_u32 s24, 7
	s_cbranch_scc1 .LBB3_484
; %bb.481:                              ;   in Loop: Header=BB3_449 Depth=1
	s_cmp_eq_u32 s24, 0
	s_cbranch_scc1 .LBB3_485
; %bb.482:                              ;   in Loop: Header=BB3_449 Depth=1
	v_mov_b32_e32 v16, 0
	s_mov_b64 s[20:21], 0
	v_mov_b32_e32 v17, 0
	s_mov_b64 s[22:23], 0
.LBB3_483:                              ;   Parent Loop BB3_449 Depth=1
                                        ; =>  This Inner Loop Header: Depth=2
	s_add_u32 s26, s4, s22
	s_addc_u32 s27, s5, s23
	global_load_ubyte v6, v26, s[26:27]
	s_add_u32 s22, s22, 1
	s_addc_u32 s23, s23, 0
	s_waitcnt vmcnt(0)
	v_and_b32_e32 v25, 0xffff, v6
	v_lshlrev_b64 v[6:7], s20, v[25:26]
	s_add_u32 s20, s20, 8
	s_addc_u32 s21, s21, 0
	v_or_b32_e32 v16, v6, v16
	s_cmp_lg_u32 s24, s22
	v_or_b32_e32 v17, v7, v17
	s_cbranch_scc1 .LBB3_483
	s_branch .LBB3_486
.LBB3_484:                              ;   in Loop: Header=BB3_449 Depth=1
                                        ; implicit-def: $sgpr15
	s_branch .LBB3_487
.LBB3_485:                              ;   in Loop: Header=BB3_449 Depth=1
	v_mov_b32_e32 v16, 0
	v_mov_b32_e32 v17, 0
.LBB3_486:                              ;   in Loop: Header=BB3_449 Depth=1
	s_mov_b32 s15, 0
	s_cbranch_execnz .LBB3_488
.LBB3_487:                              ;   in Loop: Header=BB3_449 Depth=1
	global_load_dwordx2 v[16:17], v26, s[4:5]
	s_add_i32 s15, s24, -8
	s_add_u32 s4, s4, 8
	s_addc_u32 s5, s5, 0
.LBB3_488:                              ;   in Loop: Header=BB3_449 Depth=1
	s_cmp_gt_u32 s15, 7
	s_cbranch_scc1 .LBB3_492
; %bb.489:                              ;   in Loop: Header=BB3_449 Depth=1
	s_cmp_eq_u32 s15, 0
	s_cbranch_scc1 .LBB3_493
; %bb.490:                              ;   in Loop: Header=BB3_449 Depth=1
	v_mov_b32_e32 v18, 0
	s_mov_b64 s[20:21], 0
	v_mov_b32_e32 v19, 0
	s_mov_b64 s[22:23], 0
.LBB3_491:                              ;   Parent Loop BB3_449 Depth=1
                                        ; =>  This Inner Loop Header: Depth=2
	s_add_u32 s24, s4, s22
	s_addc_u32 s25, s5, s23
	global_load_ubyte v6, v26, s[24:25]
	s_add_u32 s22, s22, 1
	s_addc_u32 s23, s23, 0
	s_waitcnt vmcnt(0)
	v_and_b32_e32 v25, 0xffff, v6
	v_lshlrev_b64 v[6:7], s20, v[25:26]
	s_add_u32 s20, s20, 8
	s_addc_u32 s21, s21, 0
	v_or_b32_e32 v18, v6, v18
	s_cmp_lg_u32 s15, s22
	v_or_b32_e32 v19, v7, v19
	s_cbranch_scc1 .LBB3_491
	s_branch .LBB3_494
.LBB3_492:                              ;   in Loop: Header=BB3_449 Depth=1
                                        ; implicit-def: $vgpr18_vgpr19
                                        ; implicit-def: $sgpr24
	s_branch .LBB3_495
.LBB3_493:                              ;   in Loop: Header=BB3_449 Depth=1
	v_mov_b32_e32 v18, 0
	v_mov_b32_e32 v19, 0
.LBB3_494:                              ;   in Loop: Header=BB3_449 Depth=1
	s_mov_b32 s24, 0
	s_cbranch_execnz .LBB3_496
.LBB3_495:                              ;   in Loop: Header=BB3_449 Depth=1
	global_load_dwordx2 v[18:19], v26, s[4:5]
	s_add_i32 s24, s15, -8
	s_add_u32 s4, s4, 8
	s_addc_u32 s5, s5, 0
.LBB3_496:                              ;   in Loop: Header=BB3_449 Depth=1
	s_cmp_gt_u32 s24, 7
	s_cbranch_scc1 .LBB3_500
; %bb.497:                              ;   in Loop: Header=BB3_449 Depth=1
	s_cmp_eq_u32 s24, 0
	s_cbranch_scc1 .LBB3_501
; %bb.498:                              ;   in Loop: Header=BB3_449 Depth=1
	v_mov_b32_e32 v20, 0
	s_mov_b64 s[20:21], 0
	v_mov_b32_e32 v21, 0
	s_mov_b64 s[22:23], s[4:5]
.LBB3_499:                              ;   Parent Loop BB3_449 Depth=1
                                        ; =>  This Inner Loop Header: Depth=2
	global_load_ubyte v6, v26, s[22:23]
	s_add_i32 s24, s24, -1
	s_waitcnt vmcnt(0)
	v_and_b32_e32 v25, 0xffff, v6
	v_lshlrev_b64 v[6:7], s20, v[25:26]
	s_add_u32 s20, s20, 8
	s_addc_u32 s21, s21, 0
	s_add_u32 s22, s22, 1
	s_addc_u32 s23, s23, 0
	v_or_b32_e32 v20, v6, v20
	s_cmp_lg_u32 s24, 0
	v_or_b32_e32 v21, v7, v21
	s_cbranch_scc1 .LBB3_499
	s_branch .LBB3_502
.LBB3_500:                              ;   in Loop: Header=BB3_449 Depth=1
	s_branch .LBB3_503
.LBB3_501:                              ;   in Loop: Header=BB3_449 Depth=1
	v_mov_b32_e32 v20, 0
	v_mov_b32_e32 v21, 0
.LBB3_502:                              ;   in Loop: Header=BB3_449 Depth=1
	s_cbranch_execnz .LBB3_504
.LBB3_503:                              ;   in Loop: Header=BB3_449 Depth=1
	global_load_dwordx2 v[20:21], v26, s[4:5]
.LBB3_504:                              ;   in Loop: Header=BB3_449 Depth=1
	v_readfirstlane_b32 s4, v50
	v_mov_b32_e32 v6, 0
	v_mov_b32_e32 v7, 0
	v_cmp_eq_u32_e64 s[4:5], s4, v50
	s_and_saveexec_b64 s[20:21], s[4:5]
	s_cbranch_execz .LBB3_510
; %bb.505:                              ;   in Loop: Header=BB3_449 Depth=1
	global_load_dwordx2 v[24:25], v26, s[36:37] offset:24 glc
	s_waitcnt vmcnt(0)
	buffer_wbinvl1_vol
	global_load_dwordx2 v[6:7], v26, s[36:37] offset:40
	global_load_dwordx2 v[22:23], v26, s[36:37]
	s_waitcnt vmcnt(1)
	v_and_b32_e32 v6, v6, v24
	v_and_b32_e32 v7, v7, v25
	v_mul_lo_u32 v7, v7, 24
	v_mul_hi_u32 v27, v6, 24
	v_mul_lo_u32 v6, v6, 24
	v_add_u32_e32 v7, v27, v7
	s_waitcnt vmcnt(0)
	v_add_co_u32_e32 v6, vcc, v22, v6
	v_addc_co_u32_e32 v7, vcc, v23, v7, vcc
	global_load_dwordx2 v[22:23], v[6:7], off glc
	s_waitcnt vmcnt(0)
	global_atomic_cmpswap_x2 v[6:7], v26, v[22:25], s[36:37] offset:24 glc
	s_waitcnt vmcnt(0)
	buffer_wbinvl1_vol
	v_cmp_ne_u64_e32 vcc, v[6:7], v[24:25]
	s_and_saveexec_b64 s[22:23], vcc
	s_cbranch_execz .LBB3_509
; %bb.506:                              ;   in Loop: Header=BB3_449 Depth=1
	s_mov_b64 s[24:25], 0
.LBB3_507:                              ;   Parent Loop BB3_449 Depth=1
                                        ; =>  This Inner Loop Header: Depth=2
	s_sleep 1
	global_load_dwordx2 v[22:23], v26, s[36:37] offset:40
	global_load_dwordx2 v[27:28], v26, s[36:37]
	v_mov_b32_e32 v25, v7
	v_mov_b32_e32 v24, v6
	s_waitcnt vmcnt(1)
	v_and_b32_e32 v6, v22, v24
	s_waitcnt vmcnt(0)
	v_mad_u64_u32 v[6:7], s[26:27], v6, 24, v[27:28]
	v_and_b32_e32 v22, v23, v25
	v_mad_u64_u32 v[22:23], s[26:27], v22, 24, v[7:8]
	v_mov_b32_e32 v7, v22
	global_load_dwordx2 v[22:23], v[6:7], off glc
	s_waitcnt vmcnt(0)
	global_atomic_cmpswap_x2 v[6:7], v26, v[22:25], s[36:37] offset:24 glc
	s_waitcnt vmcnt(0)
	buffer_wbinvl1_vol
	v_cmp_eq_u64_e32 vcc, v[6:7], v[24:25]
	s_or_b64 s[24:25], vcc, s[24:25]
	s_andn2_b64 exec, exec, s[24:25]
	s_cbranch_execnz .LBB3_507
; %bb.508:                              ;   in Loop: Header=BB3_449 Depth=1
	s_or_b64 exec, exec, s[24:25]
.LBB3_509:                              ;   in Loop: Header=BB3_449 Depth=1
	s_or_b64 exec, exec, s[22:23]
.LBB3_510:                              ;   in Loop: Header=BB3_449 Depth=1
	s_or_b64 exec, exec, s[20:21]
	global_load_dwordx2 v[27:28], v26, s[36:37] offset:40
	global_load_dwordx4 v[22:25], v26, s[36:37]
	v_readfirstlane_b32 s20, v6
	v_readfirstlane_b32 s21, v7
	s_mov_b64 s[22:23], exec
	s_waitcnt vmcnt(1)
	v_readfirstlane_b32 s24, v27
	v_readfirstlane_b32 s25, v28
	s_and_b64 s[24:25], s[20:21], s[24:25]
	s_mul_i32 s15, s25, 24
	s_mul_hi_u32 s26, s24, 24
	s_mul_i32 s27, s24, 24
	s_add_i32 s15, s26, s15
	v_mov_b32_e32 v6, s15
	s_waitcnt vmcnt(0)
	v_add_co_u32_e32 v27, vcc, s27, v22
	v_addc_co_u32_e32 v28, vcc, v23, v6, vcc
	s_and_saveexec_b64 s[26:27], s[4:5]
	s_cbranch_execz .LBB3_512
; %bb.511:                              ;   in Loop: Header=BB3_449 Depth=1
	v_mov_b32_e32 v6, s22
	v_mov_b32_e32 v7, s23
	global_store_dwordx4 v[27:28], v[6:9], off offset:8
.LBB3_512:                              ;   in Loop: Header=BB3_449 Depth=1
	s_or_b64 exec, exec, s[26:27]
	s_lshl_b64 s[22:23], s[24:25], 12
	v_mov_b32_e32 v6, s23
	v_add_co_u32_e32 v24, vcc, s22, v24
	v_addc_co_u32_e32 v30, vcc, v25, v6, vcc
	v_cmp_gt_u64_e64 vcc, s[16:17], 56
	v_or_b32_e32 v7, v0, v29
	s_lshl_b32 s15, s18, 2
	v_cndmask_b32_e32 v0, v7, v0, vcc
	s_add_i32 s15, s15, 28
	v_or_b32_e32 v6, 0, v1
	s_and_b32 s15, s15, 0x1e0
	v_and_b32_e32 v0, 0xffffff1f, v0
	v_cndmask_b32_e32 v1, v6, v1, vcc
	v_or_b32_e32 v0, s15, v0
	v_readfirstlane_b32 s22, v24
	v_readfirstlane_b32 s23, v30
	s_nop 4
	global_store_dwordx4 v39, v[0:3], s[22:23]
	global_store_dwordx4 v39, v[10:13], s[22:23] offset:16
	global_store_dwordx4 v39, v[14:17], s[22:23] offset:32
	;; [unrolled: 1-line block ×3, first 2 shown]
	s_and_saveexec_b64 s[22:23], s[4:5]
	s_cbranch_execz .LBB3_520
; %bb.513:                              ;   in Loop: Header=BB3_449 Depth=1
	global_load_dwordx2 v[12:13], v26, s[36:37] offset:32 glc
	global_load_dwordx2 v[0:1], v26, s[36:37] offset:40
	v_mov_b32_e32 v10, s20
	v_mov_b32_e32 v11, s21
	s_waitcnt vmcnt(0)
	v_readfirstlane_b32 s24, v0
	v_readfirstlane_b32 s25, v1
	s_and_b64 s[24:25], s[24:25], s[20:21]
	s_mul_i32 s15, s25, 24
	s_mul_hi_u32 s25, s24, 24
	s_mul_i32 s24, s24, 24
	s_add_i32 s15, s25, s15
	v_mov_b32_e32 v0, s15
	v_add_co_u32_e32 v6, vcc, s24, v22
	v_addc_co_u32_e32 v7, vcc, v23, v0, vcc
	global_store_dwordx2 v[6:7], v[12:13], off
	s_waitcnt vmcnt(0)
	global_atomic_cmpswap_x2 v[2:3], v26, v[10:13], s[36:37] offset:32 glc
	s_waitcnt vmcnt(0)
	v_cmp_ne_u64_e32 vcc, v[2:3], v[12:13]
	s_and_saveexec_b64 s[24:25], vcc
	s_cbranch_execz .LBB3_516
; %bb.514:                              ;   in Loop: Header=BB3_449 Depth=1
	s_mov_b64 s[26:27], 0
.LBB3_515:                              ;   Parent Loop BB3_449 Depth=1
                                        ; =>  This Inner Loop Header: Depth=2
	s_sleep 1
	global_store_dwordx2 v[6:7], v[2:3], off
	v_mov_b32_e32 v0, s20
	v_mov_b32_e32 v1, s21
	s_waitcnt vmcnt(0)
	global_atomic_cmpswap_x2 v[0:1], v26, v[0:3], s[36:37] offset:32 glc
	s_waitcnt vmcnt(0)
	v_cmp_eq_u64_e32 vcc, v[0:1], v[2:3]
	v_mov_b32_e32 v3, v1
	s_or_b64 s[26:27], vcc, s[26:27]
	v_mov_b32_e32 v2, v0
	s_andn2_b64 exec, exec, s[26:27]
	s_cbranch_execnz .LBB3_515
.LBB3_516:                              ;   in Loop: Header=BB3_449 Depth=1
	s_or_b64 exec, exec, s[24:25]
	global_load_dwordx2 v[0:1], v26, s[36:37] offset:16
	s_mov_b64 s[26:27], exec
	v_mbcnt_lo_u32_b32 v2, s26, 0
	v_mbcnt_hi_u32_b32 v2, s27, v2
	v_cmp_eq_u32_e32 vcc, 0, v2
	s_and_saveexec_b64 s[24:25], vcc
	s_cbranch_execz .LBB3_518
; %bb.517:                              ;   in Loop: Header=BB3_449 Depth=1
	s_bcnt1_i32_b64 s15, s[26:27]
	v_mov_b32_e32 v25, s15
	s_waitcnt vmcnt(0)
	global_atomic_add_x2 v[0:1], v[25:26], off offset:8
.LBB3_518:                              ;   in Loop: Header=BB3_449 Depth=1
	s_or_b64 exec, exec, s[24:25]
	s_waitcnt vmcnt(0)
	global_load_dwordx2 v[2:3], v[0:1], off offset:16
	s_waitcnt vmcnt(0)
	v_cmp_eq_u64_e32 vcc, 0, v[2:3]
	s_cbranch_vccnz .LBB3_520
; %bb.519:                              ;   in Loop: Header=BB3_449 Depth=1
	global_load_dword v25, v[0:1], off offset:24
	s_waitcnt vmcnt(0)
	v_and_b32_e32 v0, 0xffffff, v25
	v_readfirstlane_b32 m0, v0
	global_store_dwordx2 v[2:3], v[25:26], off
	s_sendmsg sendmsg(MSG_INTERRUPT)
.LBB3_520:                              ;   in Loop: Header=BB3_449 Depth=1
	s_or_b64 exec, exec, s[22:23]
	v_add_co_u32_e32 v0, vcc, v24, v39
	v_addc_co_u32_e32 v1, vcc, 0, v30, vcc
	s_branch .LBB3_524
.LBB3_521:                              ;   in Loop: Header=BB3_524 Depth=2
	s_or_b64 exec, exec, s[22:23]
	v_readfirstlane_b32 s15, v2
	s_cmp_eq_u32 s15, 0
	s_cbranch_scc1 .LBB3_523
; %bb.522:                              ;   in Loop: Header=BB3_524 Depth=2
	s_sleep 1
	s_cbranch_execnz .LBB3_524
	s_branch .LBB3_526
.LBB3_523:                              ;   in Loop: Header=BB3_449 Depth=1
	s_branch .LBB3_526
.LBB3_524:                              ;   Parent Loop BB3_449 Depth=1
                                        ; =>  This Inner Loop Header: Depth=2
	v_mov_b32_e32 v2, 1
	s_and_saveexec_b64 s[22:23], s[4:5]
	s_cbranch_execz .LBB3_521
; %bb.525:                              ;   in Loop: Header=BB3_524 Depth=2
	global_load_dword v2, v[27:28], off offset:20 glc
	s_waitcnt vmcnt(0)
	buffer_wbinvl1_vol
	v_and_b32_e32 v2, 1, v2
	s_branch .LBB3_521
.LBB3_526:                              ;   in Loop: Header=BB3_449 Depth=1
	global_load_dwordx4 v[0:3], v[0:1], off
	s_and_saveexec_b64 s[22:23], s[4:5]
	s_cbranch_execz .LBB3_448
; %bb.527:                              ;   in Loop: Header=BB3_449 Depth=1
	global_load_dwordx2 v[2:3], v26, s[36:37] offset:40
	global_load_dwordx2 v[6:7], v26, s[36:37] offset:24 glc
	global_load_dwordx2 v[13:14], v26, s[36:37]
	v_mov_b32_e32 v11, s21
	s_waitcnt vmcnt(2)
	v_add_co_u32_e32 v12, vcc, 1, v2
	v_addc_co_u32_e32 v15, vcc, 0, v3, vcc
	v_add_co_u32_e32 v10, vcc, s20, v12
	v_addc_co_u32_e32 v11, vcc, v15, v11, vcc
	v_cmp_eq_u64_e32 vcc, 0, v[10:11]
	v_cndmask_b32_e32 v11, v11, v15, vcc
	v_cndmask_b32_e32 v10, v10, v12, vcc
	v_and_b32_e32 v3, v11, v3
	v_and_b32_e32 v2, v10, v2
	v_mul_lo_u32 v3, v3, 24
	v_mul_hi_u32 v15, v2, 24
	v_mul_lo_u32 v2, v2, 24
	s_waitcnt vmcnt(1)
	v_mov_b32_e32 v12, v6
	v_add_u32_e32 v3, v15, v3
	s_waitcnt vmcnt(0)
	v_add_co_u32_e32 v2, vcc, v13, v2
	v_addc_co_u32_e32 v3, vcc, v14, v3, vcc
	global_store_dwordx2 v[2:3], v[6:7], off
	v_mov_b32_e32 v13, v7
	s_waitcnt vmcnt(0)
	global_atomic_cmpswap_x2 v[12:13], v26, v[10:13], s[36:37] offset:24 glc
	s_waitcnt vmcnt(0)
	v_cmp_ne_u64_e32 vcc, v[12:13], v[6:7]
	s_and_b64 exec, exec, vcc
	s_cbranch_execz .LBB3_448
; %bb.528:                              ;   in Loop: Header=BB3_449 Depth=1
	s_mov_b64 s[4:5], 0
.LBB3_529:                              ;   Parent Loop BB3_449 Depth=1
                                        ; =>  This Inner Loop Header: Depth=2
	s_sleep 1
	global_store_dwordx2 v[2:3], v[12:13], off
	s_waitcnt vmcnt(0)
	global_atomic_cmpswap_x2 v[6:7], v26, v[10:13], s[36:37] offset:24 glc
	s_waitcnt vmcnt(0)
	v_cmp_eq_u64_e32 vcc, v[6:7], v[12:13]
	v_mov_b32_e32 v13, v7
	s_or_b64 s[4:5], vcc, s[4:5]
	v_mov_b32_e32 v12, v6
	s_andn2_b64 exec, exec, s[4:5]
	s_cbranch_execnz .LBB3_529
	s_branch .LBB3_448
.LBB3_530:
	s_branch .LBB3_558
.LBB3_531:
                                        ; implicit-def: $vgpr0_vgpr1
	s_cbranch_execz .LBB3_558
; %bb.532:
	v_readfirstlane_b32 s4, v50
	v_mov_b32_e32 v7, 0
	v_mov_b32_e32 v8, 0
	v_cmp_eq_u32_e64 s[4:5], s4, v50
	s_and_saveexec_b64 s[10:11], s[4:5]
	s_cbranch_execz .LBB3_538
; %bb.533:
	s_waitcnt vmcnt(0)
	v_mov_b32_e32 v0, 0
	global_load_dwordx2 v[9:10], v0, s[36:37] offset:24 glc
	s_waitcnt vmcnt(0)
	buffer_wbinvl1_vol
	global_load_dwordx2 v[1:2], v0, s[36:37] offset:40
	global_load_dwordx2 v[6:7], v0, s[36:37]
	s_waitcnt vmcnt(1)
	v_and_b32_e32 v1, v1, v9
	v_and_b32_e32 v2, v2, v10
	v_mul_lo_u32 v2, v2, 24
	v_mul_hi_u32 v3, v1, 24
	v_mul_lo_u32 v1, v1, 24
	v_add_u32_e32 v2, v3, v2
	s_waitcnt vmcnt(0)
	v_add_co_u32_e32 v1, vcc, v6, v1
	v_addc_co_u32_e32 v2, vcc, v7, v2, vcc
	global_load_dwordx2 v[7:8], v[1:2], off glc
	s_waitcnt vmcnt(0)
	global_atomic_cmpswap_x2 v[7:8], v0, v[7:10], s[36:37] offset:24 glc
	s_waitcnt vmcnt(0)
	buffer_wbinvl1_vol
	v_cmp_ne_u64_e32 vcc, v[7:8], v[9:10]
	s_and_saveexec_b64 s[16:17], vcc
	s_cbranch_execz .LBB3_537
; %bb.534:
	s_mov_b64 s[18:19], 0
.LBB3_535:                              ; =>This Inner Loop Header: Depth=1
	s_sleep 1
	global_load_dwordx2 v[1:2], v0, s[36:37] offset:40
	global_load_dwordx2 v[11:12], v0, s[36:37]
	v_mov_b32_e32 v10, v8
	v_mov_b32_e32 v9, v7
	s_waitcnt vmcnt(1)
	v_and_b32_e32 v1, v1, v9
	s_waitcnt vmcnt(0)
	v_mad_u64_u32 v[6:7], s[20:21], v1, 24, v[11:12]
	v_and_b32_e32 v2, v2, v10
	v_mov_b32_e32 v1, v7
	v_mad_u64_u32 v[1:2], s[20:21], v2, 24, v[1:2]
	v_mov_b32_e32 v7, v1
	global_load_dwordx2 v[7:8], v[6:7], off glc
	s_waitcnt vmcnt(0)
	global_atomic_cmpswap_x2 v[7:8], v0, v[7:10], s[36:37] offset:24 glc
	s_waitcnt vmcnt(0)
	buffer_wbinvl1_vol
	v_cmp_eq_u64_e32 vcc, v[7:8], v[9:10]
	s_or_b64 s[18:19], vcc, s[18:19]
	s_andn2_b64 exec, exec, s[18:19]
	s_cbranch_execnz .LBB3_535
; %bb.536:
	s_or_b64 exec, exec, s[18:19]
.LBB3_537:
	s_or_b64 exec, exec, s[16:17]
.LBB3_538:
	s_or_b64 exec, exec, s[10:11]
	v_mov_b32_e32 v6, 0
	global_load_dwordx2 v[9:10], v6, s[36:37] offset:40
	global_load_dwordx4 v[0:3], v6, s[36:37]
	v_readfirstlane_b32 s10, v7
	v_readfirstlane_b32 s11, v8
	s_mov_b64 s[16:17], exec
	s_waitcnt vmcnt(1)
	v_readfirstlane_b32 s18, v9
	v_readfirstlane_b32 s19, v10
	s_and_b64 s[18:19], s[10:11], s[18:19]
	s_mul_i32 s15, s19, 24
	s_mul_hi_u32 s20, s18, 24
	s_mul_i32 s21, s18, 24
	s_add_i32 s15, s20, s15
	v_mov_b32_e32 v7, s15
	s_waitcnt vmcnt(0)
	v_add_co_u32_e32 v8, vcc, s21, v0
	v_addc_co_u32_e32 v9, vcc, v1, v7, vcc
	s_and_saveexec_b64 s[20:21], s[4:5]
	s_cbranch_execz .LBB3_540
; %bb.539:
	v_mov_b32_e32 v10, s16
	v_mov_b32_e32 v11, s17
	;; [unrolled: 1-line block ×4, first 2 shown]
	global_store_dwordx4 v[8:9], v[10:13], off offset:8
.LBB3_540:
	s_or_b64 exec, exec, s[20:21]
	s_lshl_b64 s[16:17], s[18:19], 12
	v_mov_b32_e32 v7, s17
	v_add_co_u32_e32 v2, vcc, s16, v2
	v_addc_co_u32_e32 v3, vcc, v3, v7, vcc
	s_movk_i32 s15, 0xff1f
	v_and_or_b32 v4, v4, s15, 32
	v_add_co_u32_e32 v10, vcc, v2, v39
	s_mov_b32 s16, 0
	v_mov_b32_e32 v7, v6
	v_readfirstlane_b32 s20, v2
	v_readfirstlane_b32 s21, v3
	v_addc_co_u32_e32 v11, vcc, 0, v3, vcc
	s_mov_b32 s17, s16
	s_mov_b32 s18, s16
	;; [unrolled: 1-line block ×3, first 2 shown]
	s_nop 0
	global_store_dwordx4 v39, v[4:7], s[20:21]
	v_mov_b32_e32 v2, s16
	v_mov_b32_e32 v3, s17
	;; [unrolled: 1-line block ×4, first 2 shown]
	global_store_dwordx4 v39, v[2:5], s[20:21] offset:16
	global_store_dwordx4 v39, v[2:5], s[20:21] offset:32
	;; [unrolled: 1-line block ×3, first 2 shown]
	s_and_saveexec_b64 s[16:17], s[4:5]
	s_cbranch_execz .LBB3_548
; %bb.541:
	v_mov_b32_e32 v6, 0
	global_load_dwordx2 v[14:15], v6, s[36:37] offset:32 glc
	global_load_dwordx2 v[2:3], v6, s[36:37] offset:40
	v_mov_b32_e32 v12, s10
	v_mov_b32_e32 v13, s11
	s_waitcnt vmcnt(0)
	v_readfirstlane_b32 s18, v2
	v_readfirstlane_b32 s19, v3
	s_and_b64 s[18:19], s[18:19], s[10:11]
	s_mul_i32 s15, s19, 24
	s_mul_hi_u32 s19, s18, 24
	s_mul_i32 s18, s18, 24
	s_add_i32 s15, s19, s15
	v_mov_b32_e32 v2, s15
	v_add_co_u32_e32 v4, vcc, s18, v0
	v_addc_co_u32_e32 v5, vcc, v1, v2, vcc
	global_store_dwordx2 v[4:5], v[14:15], off
	s_waitcnt vmcnt(0)
	global_atomic_cmpswap_x2 v[2:3], v6, v[12:15], s[36:37] offset:32 glc
	s_waitcnt vmcnt(0)
	v_cmp_ne_u64_e32 vcc, v[2:3], v[14:15]
	s_and_saveexec_b64 s[18:19], vcc
	s_cbranch_execz .LBB3_544
; %bb.542:
	s_mov_b64 s[20:21], 0
.LBB3_543:                              ; =>This Inner Loop Header: Depth=1
	s_sleep 1
	global_store_dwordx2 v[4:5], v[2:3], off
	v_mov_b32_e32 v0, s10
	v_mov_b32_e32 v1, s11
	s_waitcnt vmcnt(0)
	global_atomic_cmpswap_x2 v[0:1], v6, v[0:3], s[36:37] offset:32 glc
	s_waitcnt vmcnt(0)
	v_cmp_eq_u64_e32 vcc, v[0:1], v[2:3]
	v_mov_b32_e32 v3, v1
	s_or_b64 s[20:21], vcc, s[20:21]
	v_mov_b32_e32 v2, v0
	s_andn2_b64 exec, exec, s[20:21]
	s_cbranch_execnz .LBB3_543
.LBB3_544:
	s_or_b64 exec, exec, s[18:19]
	v_mov_b32_e32 v3, 0
	global_load_dwordx2 v[0:1], v3, s[36:37] offset:16
	s_mov_b64 s[18:19], exec
	v_mbcnt_lo_u32_b32 v2, s18, 0
	v_mbcnt_hi_u32_b32 v2, s19, v2
	v_cmp_eq_u32_e32 vcc, 0, v2
	s_and_saveexec_b64 s[20:21], vcc
	s_cbranch_execz .LBB3_546
; %bb.545:
	s_bcnt1_i32_b64 s15, s[18:19]
	v_mov_b32_e32 v2, s15
	s_waitcnt vmcnt(0)
	global_atomic_add_x2 v[0:1], v[2:3], off offset:8
.LBB3_546:
	s_or_b64 exec, exec, s[20:21]
	s_waitcnt vmcnt(0)
	global_load_dwordx2 v[2:3], v[0:1], off offset:16
	s_waitcnt vmcnt(0)
	v_cmp_eq_u64_e32 vcc, 0, v[2:3]
	s_cbranch_vccnz .LBB3_548
; %bb.547:
	global_load_dword v0, v[0:1], off offset:24
	v_mov_b32_e32 v1, 0
	s_waitcnt vmcnt(0)
	global_store_dwordx2 v[2:3], v[0:1], off
	v_and_b32_e32 v0, 0xffffff, v0
	v_readfirstlane_b32 m0, v0
	s_sendmsg sendmsg(MSG_INTERRUPT)
.LBB3_548:
	s_or_b64 exec, exec, s[16:17]
	s_branch .LBB3_552
.LBB3_549:                              ;   in Loop: Header=BB3_552 Depth=1
	s_or_b64 exec, exec, s[16:17]
	v_readfirstlane_b32 s15, v0
	s_cmp_eq_u32 s15, 0
	s_cbranch_scc1 .LBB3_551
; %bb.550:                              ;   in Loop: Header=BB3_552 Depth=1
	s_sleep 1
	s_cbranch_execnz .LBB3_552
	s_branch .LBB3_554
.LBB3_551:
	s_branch .LBB3_554
.LBB3_552:                              ; =>This Inner Loop Header: Depth=1
	v_mov_b32_e32 v0, 1
	s_and_saveexec_b64 s[16:17], s[4:5]
	s_cbranch_execz .LBB3_549
; %bb.553:                              ;   in Loop: Header=BB3_552 Depth=1
	global_load_dword v0, v[8:9], off offset:20 glc
	s_waitcnt vmcnt(0)
	buffer_wbinvl1_vol
	v_and_b32_e32 v0, 1, v0
	s_branch .LBB3_549
.LBB3_554:
	global_load_dwordx2 v[0:1], v[10:11], off
	s_and_saveexec_b64 s[16:17], s[4:5]
	s_cbranch_execz .LBB3_557
; %bb.555:
	v_mov_b32_e32 v8, 0
	global_load_dwordx2 v[4:5], v8, s[36:37] offset:40
	global_load_dwordx2 v[9:10], v8, s[36:37] offset:24 glc
	global_load_dwordx2 v[6:7], v8, s[36:37]
	v_mov_b32_e32 v3, s11
	s_mov_b64 s[4:5], 0
	s_waitcnt vmcnt(2)
	v_add_co_u32_e32 v11, vcc, 1, v4
	v_addc_co_u32_e32 v12, vcc, 0, v5, vcc
	v_add_co_u32_e32 v2, vcc, s10, v11
	v_addc_co_u32_e32 v3, vcc, v12, v3, vcc
	v_cmp_eq_u64_e32 vcc, 0, v[2:3]
	v_cndmask_b32_e32 v3, v3, v12, vcc
	v_cndmask_b32_e32 v2, v2, v11, vcc
	v_and_b32_e32 v5, v3, v5
	v_and_b32_e32 v4, v2, v4
	v_mul_lo_u32 v5, v5, 24
	v_mul_hi_u32 v11, v4, 24
	v_mul_lo_u32 v12, v4, 24
	s_waitcnt vmcnt(1)
	v_mov_b32_e32 v4, v9
	v_add_u32_e32 v5, v11, v5
	s_waitcnt vmcnt(0)
	v_add_co_u32_e32 v6, vcc, v6, v12
	v_addc_co_u32_e32 v7, vcc, v7, v5, vcc
	global_store_dwordx2 v[6:7], v[9:10], off
	v_mov_b32_e32 v5, v10
	s_waitcnt vmcnt(0)
	global_atomic_cmpswap_x2 v[4:5], v8, v[2:5], s[36:37] offset:24 glc
	s_waitcnt vmcnt(0)
	v_cmp_ne_u64_e32 vcc, v[4:5], v[9:10]
	s_and_b64 exec, exec, vcc
	s_cbranch_execz .LBB3_557
.LBB3_556:                              ; =>This Inner Loop Header: Depth=1
	s_sleep 1
	global_store_dwordx2 v[6:7], v[4:5], off
	s_waitcnt vmcnt(0)
	global_atomic_cmpswap_x2 v[9:10], v8, v[2:5], s[36:37] offset:24 glc
	s_waitcnt vmcnt(0)
	v_cmp_eq_u64_e32 vcc, v[9:10], v[4:5]
	v_mov_b32_e32 v4, v9
	s_or_b64 s[4:5], vcc, s[4:5]
	v_mov_b32_e32 v5, v10
	s_andn2_b64 exec, exec, s[4:5]
	s_cbranch_execnz .LBB3_556
.LBB3_557:
	s_or_b64 exec, exec, s[16:17]
.LBB3_558:
	s_getpc_b64 s[10:11]
	s_add_u32 s10, s10, .str.1@rel32@lo+4
	s_addc_u32 s11, s11, .str.1@rel32@hi+12
	s_cmp_lg_u64 s[10:11], 0
	s_cbranch_scc0 .LBB3_643
; %bb.559:
	s_waitcnt vmcnt(0)
	v_and_b32_e32 v6, -3, v0
	v_mov_b32_e32 v7, v1
	s_mov_b64 s[16:17], 0x53
	v_mov_b32_e32 v26, 0
	v_mov_b32_e32 v4, 2
	;; [unrolled: 1-line block ×3, first 2 shown]
	s_branch .LBB3_561
.LBB3_560:                              ;   in Loop: Header=BB3_561 Depth=1
	s_or_b64 exec, exec, s[22:23]
	s_sub_u32 s16, s16, s18
	s_subb_u32 s17, s17, s19
	s_add_u32 s10, s10, s18
	s_addc_u32 s11, s11, s19
	s_cmp_lg_u64 s[16:17], 0
	s_cbranch_scc0 .LBB3_642
.LBB3_561:                              ; =>This Loop Header: Depth=1
                                        ;     Child Loop BB3_564 Depth 2
                                        ;     Child Loop BB3_571 Depth 2
	;; [unrolled: 1-line block ×11, first 2 shown]
	v_cmp_lt_u64_e64 s[4:5], s[16:17], 56
	v_cmp_gt_u64_e64 s[20:21], s[16:17], 7
	s_and_b64 s[4:5], s[4:5], exec
	s_cselect_b32 s19, s17, 0
	s_cselect_b32 s18, s16, 56
	s_and_b64 vcc, exec, s[20:21]
	s_cbranch_vccnz .LBB3_566
; %bb.562:                              ;   in Loop: Header=BB3_561 Depth=1
	s_waitcnt vmcnt(0)
	v_mov_b32_e32 v8, 0
	s_cmp_eq_u64 s[16:17], 0
	v_mov_b32_e32 v9, 0
	s_mov_b64 s[4:5], 0
	s_cbranch_scc1 .LBB3_565
; %bb.563:                              ;   in Loop: Header=BB3_561 Depth=1
	v_mov_b32_e32 v8, 0
	s_lshl_b64 s[20:21], s[18:19], 3
	s_mov_b64 s[22:23], 0
	v_mov_b32_e32 v9, 0
	s_mov_b64 s[24:25], s[10:11]
.LBB3_564:                              ;   Parent Loop BB3_561 Depth=1
                                        ; =>  This Inner Loop Header: Depth=2
	global_load_ubyte v2, v26, s[24:25]
	s_waitcnt vmcnt(0)
	v_and_b32_e32 v25, 0xffff, v2
	v_lshlrev_b64 v[2:3], s22, v[25:26]
	s_add_u32 s22, s22, 8
	s_addc_u32 s23, s23, 0
	s_add_u32 s24, s24, 1
	s_addc_u32 s25, s25, 0
	v_or_b32_e32 v8, v2, v8
	s_cmp_lg_u32 s20, s22
	v_or_b32_e32 v9, v3, v9
	s_cbranch_scc1 .LBB3_564
.LBB3_565:                              ;   in Loop: Header=BB3_561 Depth=1
	s_mov_b32 s15, 0
	s_andn2_b64 vcc, exec, s[4:5]
	s_mov_b64 s[4:5], s[10:11]
	s_cbranch_vccz .LBB3_567
	s_branch .LBB3_568
.LBB3_566:                              ;   in Loop: Header=BB3_561 Depth=1
                                        ; implicit-def: $sgpr15
	s_mov_b64 s[4:5], s[10:11]
.LBB3_567:                              ;   in Loop: Header=BB3_561 Depth=1
	global_load_dwordx2 v[8:9], v26, s[10:11]
	s_add_i32 s15, s18, -8
	s_add_u32 s4, s10, 8
	s_addc_u32 s5, s11, 0
.LBB3_568:                              ;   in Loop: Header=BB3_561 Depth=1
	s_cmp_gt_u32 s15, 7
	s_cbranch_scc1 .LBB3_572
; %bb.569:                              ;   in Loop: Header=BB3_561 Depth=1
	s_cmp_eq_u32 s15, 0
	s_cbranch_scc1 .LBB3_573
; %bb.570:                              ;   in Loop: Header=BB3_561 Depth=1
	v_mov_b32_e32 v10, 0
	s_mov_b64 s[20:21], 0
	v_mov_b32_e32 v11, 0
	s_mov_b64 s[22:23], 0
.LBB3_571:                              ;   Parent Loop BB3_561 Depth=1
                                        ; =>  This Inner Loop Header: Depth=2
	s_add_u32 s24, s4, s22
	s_addc_u32 s25, s5, s23
	global_load_ubyte v2, v26, s[24:25]
	s_add_u32 s22, s22, 1
	s_addc_u32 s23, s23, 0
	s_waitcnt vmcnt(0)
	v_and_b32_e32 v25, 0xffff, v2
	v_lshlrev_b64 v[2:3], s20, v[25:26]
	s_add_u32 s20, s20, 8
	s_addc_u32 s21, s21, 0
	v_or_b32_e32 v10, v2, v10
	s_cmp_lg_u32 s15, s22
	v_or_b32_e32 v11, v3, v11
	s_cbranch_scc1 .LBB3_571
	s_branch .LBB3_574
.LBB3_572:                              ;   in Loop: Header=BB3_561 Depth=1
                                        ; implicit-def: $vgpr10_vgpr11
                                        ; implicit-def: $sgpr24
	s_branch .LBB3_575
.LBB3_573:                              ;   in Loop: Header=BB3_561 Depth=1
	v_mov_b32_e32 v10, 0
	v_mov_b32_e32 v11, 0
.LBB3_574:                              ;   in Loop: Header=BB3_561 Depth=1
	s_mov_b32 s24, 0
	s_cbranch_execnz .LBB3_576
.LBB3_575:                              ;   in Loop: Header=BB3_561 Depth=1
	global_load_dwordx2 v[10:11], v26, s[4:5]
	s_add_i32 s24, s15, -8
	s_add_u32 s4, s4, 8
	s_addc_u32 s5, s5, 0
.LBB3_576:                              ;   in Loop: Header=BB3_561 Depth=1
	s_cmp_gt_u32 s24, 7
	s_cbranch_scc1 .LBB3_580
; %bb.577:                              ;   in Loop: Header=BB3_561 Depth=1
	s_cmp_eq_u32 s24, 0
	s_cbranch_scc1 .LBB3_581
; %bb.578:                              ;   in Loop: Header=BB3_561 Depth=1
	v_mov_b32_e32 v12, 0
	s_mov_b64 s[20:21], 0
	v_mov_b32_e32 v13, 0
	s_mov_b64 s[22:23], 0
.LBB3_579:                              ;   Parent Loop BB3_561 Depth=1
                                        ; =>  This Inner Loop Header: Depth=2
	s_add_u32 s26, s4, s22
	s_addc_u32 s27, s5, s23
	global_load_ubyte v2, v26, s[26:27]
	s_add_u32 s22, s22, 1
	s_addc_u32 s23, s23, 0
	s_waitcnt vmcnt(0)
	v_and_b32_e32 v25, 0xffff, v2
	v_lshlrev_b64 v[2:3], s20, v[25:26]
	s_add_u32 s20, s20, 8
	s_addc_u32 s21, s21, 0
	v_or_b32_e32 v12, v2, v12
	s_cmp_lg_u32 s24, s22
	v_or_b32_e32 v13, v3, v13
	s_cbranch_scc1 .LBB3_579
	s_branch .LBB3_582
.LBB3_580:                              ;   in Loop: Header=BB3_561 Depth=1
                                        ; implicit-def: $sgpr15
	s_branch .LBB3_583
.LBB3_581:                              ;   in Loop: Header=BB3_561 Depth=1
	v_mov_b32_e32 v12, 0
	v_mov_b32_e32 v13, 0
.LBB3_582:                              ;   in Loop: Header=BB3_561 Depth=1
	s_mov_b32 s15, 0
	s_cbranch_execnz .LBB3_584
.LBB3_583:                              ;   in Loop: Header=BB3_561 Depth=1
	global_load_dwordx2 v[12:13], v26, s[4:5]
	s_add_i32 s15, s24, -8
	s_add_u32 s4, s4, 8
	s_addc_u32 s5, s5, 0
.LBB3_584:                              ;   in Loop: Header=BB3_561 Depth=1
	s_cmp_gt_u32 s15, 7
	s_cbranch_scc1 .LBB3_588
; %bb.585:                              ;   in Loop: Header=BB3_561 Depth=1
	s_cmp_eq_u32 s15, 0
	s_cbranch_scc1 .LBB3_589
; %bb.586:                              ;   in Loop: Header=BB3_561 Depth=1
	v_mov_b32_e32 v14, 0
	s_mov_b64 s[20:21], 0
	v_mov_b32_e32 v15, 0
	s_mov_b64 s[22:23], 0
.LBB3_587:                              ;   Parent Loop BB3_561 Depth=1
                                        ; =>  This Inner Loop Header: Depth=2
	s_add_u32 s24, s4, s22
	s_addc_u32 s25, s5, s23
	global_load_ubyte v2, v26, s[24:25]
	s_add_u32 s22, s22, 1
	s_addc_u32 s23, s23, 0
	s_waitcnt vmcnt(0)
	v_and_b32_e32 v25, 0xffff, v2
	v_lshlrev_b64 v[2:3], s20, v[25:26]
	s_add_u32 s20, s20, 8
	s_addc_u32 s21, s21, 0
	v_or_b32_e32 v14, v2, v14
	s_cmp_lg_u32 s15, s22
	v_or_b32_e32 v15, v3, v15
	s_cbranch_scc1 .LBB3_587
	s_branch .LBB3_590
.LBB3_588:                              ;   in Loop: Header=BB3_561 Depth=1
                                        ; implicit-def: $vgpr14_vgpr15
                                        ; implicit-def: $sgpr24
	s_branch .LBB3_591
.LBB3_589:                              ;   in Loop: Header=BB3_561 Depth=1
	v_mov_b32_e32 v14, 0
	v_mov_b32_e32 v15, 0
.LBB3_590:                              ;   in Loop: Header=BB3_561 Depth=1
	s_mov_b32 s24, 0
	s_cbranch_execnz .LBB3_592
.LBB3_591:                              ;   in Loop: Header=BB3_561 Depth=1
	global_load_dwordx2 v[14:15], v26, s[4:5]
	s_add_i32 s24, s15, -8
	s_add_u32 s4, s4, 8
	s_addc_u32 s5, s5, 0
.LBB3_592:                              ;   in Loop: Header=BB3_561 Depth=1
	s_cmp_gt_u32 s24, 7
	s_cbranch_scc1 .LBB3_596
; %bb.593:                              ;   in Loop: Header=BB3_561 Depth=1
	s_cmp_eq_u32 s24, 0
	s_cbranch_scc1 .LBB3_597
; %bb.594:                              ;   in Loop: Header=BB3_561 Depth=1
	v_mov_b32_e32 v16, 0
	s_mov_b64 s[20:21], 0
	v_mov_b32_e32 v17, 0
	s_mov_b64 s[22:23], 0
.LBB3_595:                              ;   Parent Loop BB3_561 Depth=1
                                        ; =>  This Inner Loop Header: Depth=2
	s_add_u32 s26, s4, s22
	s_addc_u32 s27, s5, s23
	global_load_ubyte v2, v26, s[26:27]
	s_add_u32 s22, s22, 1
	s_addc_u32 s23, s23, 0
	s_waitcnt vmcnt(0)
	v_and_b32_e32 v25, 0xffff, v2
	v_lshlrev_b64 v[2:3], s20, v[25:26]
	s_add_u32 s20, s20, 8
	s_addc_u32 s21, s21, 0
	v_or_b32_e32 v16, v2, v16
	s_cmp_lg_u32 s24, s22
	v_or_b32_e32 v17, v3, v17
	s_cbranch_scc1 .LBB3_595
	s_branch .LBB3_598
.LBB3_596:                              ;   in Loop: Header=BB3_561 Depth=1
                                        ; implicit-def: $sgpr15
	s_branch .LBB3_599
.LBB3_597:                              ;   in Loop: Header=BB3_561 Depth=1
	v_mov_b32_e32 v16, 0
	v_mov_b32_e32 v17, 0
.LBB3_598:                              ;   in Loop: Header=BB3_561 Depth=1
	s_mov_b32 s15, 0
	s_cbranch_execnz .LBB3_600
.LBB3_599:                              ;   in Loop: Header=BB3_561 Depth=1
	global_load_dwordx2 v[16:17], v26, s[4:5]
	s_add_i32 s15, s24, -8
	s_add_u32 s4, s4, 8
	s_addc_u32 s5, s5, 0
.LBB3_600:                              ;   in Loop: Header=BB3_561 Depth=1
	s_cmp_gt_u32 s15, 7
	s_cbranch_scc1 .LBB3_604
; %bb.601:                              ;   in Loop: Header=BB3_561 Depth=1
	s_cmp_eq_u32 s15, 0
	s_cbranch_scc1 .LBB3_605
; %bb.602:                              ;   in Loop: Header=BB3_561 Depth=1
	v_mov_b32_e32 v18, 0
	s_mov_b64 s[20:21], 0
	v_mov_b32_e32 v19, 0
	s_mov_b64 s[22:23], 0
.LBB3_603:                              ;   Parent Loop BB3_561 Depth=1
                                        ; =>  This Inner Loop Header: Depth=2
	s_add_u32 s24, s4, s22
	s_addc_u32 s25, s5, s23
	global_load_ubyte v2, v26, s[24:25]
	s_add_u32 s22, s22, 1
	s_addc_u32 s23, s23, 0
	s_waitcnt vmcnt(0)
	v_and_b32_e32 v25, 0xffff, v2
	v_lshlrev_b64 v[2:3], s20, v[25:26]
	s_add_u32 s20, s20, 8
	s_addc_u32 s21, s21, 0
	v_or_b32_e32 v18, v2, v18
	s_cmp_lg_u32 s15, s22
	v_or_b32_e32 v19, v3, v19
	s_cbranch_scc1 .LBB3_603
	s_branch .LBB3_606
.LBB3_604:                              ;   in Loop: Header=BB3_561 Depth=1
                                        ; implicit-def: $vgpr18_vgpr19
                                        ; implicit-def: $sgpr24
	s_branch .LBB3_607
.LBB3_605:                              ;   in Loop: Header=BB3_561 Depth=1
	v_mov_b32_e32 v18, 0
	v_mov_b32_e32 v19, 0
.LBB3_606:                              ;   in Loop: Header=BB3_561 Depth=1
	s_mov_b32 s24, 0
	s_cbranch_execnz .LBB3_608
.LBB3_607:                              ;   in Loop: Header=BB3_561 Depth=1
	global_load_dwordx2 v[18:19], v26, s[4:5]
	s_add_i32 s24, s15, -8
	s_add_u32 s4, s4, 8
	s_addc_u32 s5, s5, 0
.LBB3_608:                              ;   in Loop: Header=BB3_561 Depth=1
	s_cmp_gt_u32 s24, 7
	s_cbranch_scc1 .LBB3_612
; %bb.609:                              ;   in Loop: Header=BB3_561 Depth=1
	s_cmp_eq_u32 s24, 0
	s_cbranch_scc1 .LBB3_613
; %bb.610:                              ;   in Loop: Header=BB3_561 Depth=1
	v_mov_b32_e32 v20, 0
	s_mov_b64 s[20:21], 0
	v_mov_b32_e32 v21, 0
	s_mov_b64 s[22:23], s[4:5]
.LBB3_611:                              ;   Parent Loop BB3_561 Depth=1
                                        ; =>  This Inner Loop Header: Depth=2
	global_load_ubyte v2, v26, s[22:23]
	s_add_i32 s24, s24, -1
	s_waitcnt vmcnt(0)
	v_and_b32_e32 v25, 0xffff, v2
	v_lshlrev_b64 v[2:3], s20, v[25:26]
	s_add_u32 s20, s20, 8
	s_addc_u32 s21, s21, 0
	s_add_u32 s22, s22, 1
	s_addc_u32 s23, s23, 0
	v_or_b32_e32 v20, v2, v20
	s_cmp_lg_u32 s24, 0
	v_or_b32_e32 v21, v3, v21
	s_cbranch_scc1 .LBB3_611
	s_branch .LBB3_614
.LBB3_612:                              ;   in Loop: Header=BB3_561 Depth=1
	s_branch .LBB3_615
.LBB3_613:                              ;   in Loop: Header=BB3_561 Depth=1
	v_mov_b32_e32 v20, 0
	v_mov_b32_e32 v21, 0
.LBB3_614:                              ;   in Loop: Header=BB3_561 Depth=1
	s_cbranch_execnz .LBB3_616
.LBB3_615:                              ;   in Loop: Header=BB3_561 Depth=1
	global_load_dwordx2 v[20:21], v26, s[4:5]
.LBB3_616:                              ;   in Loop: Header=BB3_561 Depth=1
	v_readfirstlane_b32 s4, v50
	v_mov_b32_e32 v2, 0
	v_mov_b32_e32 v3, 0
	v_cmp_eq_u32_e64 s[4:5], s4, v50
	s_and_saveexec_b64 s[20:21], s[4:5]
	s_cbranch_execz .LBB3_622
; %bb.617:                              ;   in Loop: Header=BB3_561 Depth=1
	global_load_dwordx2 v[24:25], v26, s[36:37] offset:24 glc
	s_waitcnt vmcnt(0)
	buffer_wbinvl1_vol
	global_load_dwordx2 v[2:3], v26, s[36:37] offset:40
	global_load_dwordx2 v[22:23], v26, s[36:37]
	s_waitcnt vmcnt(1)
	v_and_b32_e32 v2, v2, v24
	v_and_b32_e32 v3, v3, v25
	v_mul_lo_u32 v3, v3, 24
	v_mul_hi_u32 v27, v2, 24
	v_mul_lo_u32 v2, v2, 24
	v_add_u32_e32 v3, v27, v3
	s_waitcnt vmcnt(0)
	v_add_co_u32_e32 v2, vcc, v22, v2
	v_addc_co_u32_e32 v3, vcc, v23, v3, vcc
	global_load_dwordx2 v[22:23], v[2:3], off glc
	s_waitcnt vmcnt(0)
	global_atomic_cmpswap_x2 v[2:3], v26, v[22:25], s[36:37] offset:24 glc
	s_waitcnt vmcnt(0)
	buffer_wbinvl1_vol
	v_cmp_ne_u64_e32 vcc, v[2:3], v[24:25]
	s_and_saveexec_b64 s[22:23], vcc
	s_cbranch_execz .LBB3_621
; %bb.618:                              ;   in Loop: Header=BB3_561 Depth=1
	s_mov_b64 s[24:25], 0
.LBB3_619:                              ;   Parent Loop BB3_561 Depth=1
                                        ; =>  This Inner Loop Header: Depth=2
	s_sleep 1
	global_load_dwordx2 v[22:23], v26, s[36:37] offset:40
	global_load_dwordx2 v[27:28], v26, s[36:37]
	v_mov_b32_e32 v25, v3
	v_mov_b32_e32 v24, v2
	s_waitcnt vmcnt(1)
	v_and_b32_e32 v2, v22, v24
	s_waitcnt vmcnt(0)
	v_mad_u64_u32 v[2:3], s[26:27], v2, 24, v[27:28]
	v_and_b32_e32 v22, v23, v25
	v_mad_u64_u32 v[22:23], s[26:27], v22, 24, v[3:4]
	v_mov_b32_e32 v3, v22
	global_load_dwordx2 v[22:23], v[2:3], off glc
	s_waitcnt vmcnt(0)
	global_atomic_cmpswap_x2 v[2:3], v26, v[22:25], s[36:37] offset:24 glc
	s_waitcnt vmcnt(0)
	buffer_wbinvl1_vol
	v_cmp_eq_u64_e32 vcc, v[2:3], v[24:25]
	s_or_b64 s[24:25], vcc, s[24:25]
	s_andn2_b64 exec, exec, s[24:25]
	s_cbranch_execnz .LBB3_619
; %bb.620:                              ;   in Loop: Header=BB3_561 Depth=1
	s_or_b64 exec, exec, s[24:25]
.LBB3_621:                              ;   in Loop: Header=BB3_561 Depth=1
	s_or_b64 exec, exec, s[22:23]
.LBB3_622:                              ;   in Loop: Header=BB3_561 Depth=1
	s_or_b64 exec, exec, s[20:21]
	global_load_dwordx2 v[27:28], v26, s[36:37] offset:40
	global_load_dwordx4 v[22:25], v26, s[36:37]
	v_readfirstlane_b32 s20, v2
	v_readfirstlane_b32 s21, v3
	s_mov_b64 s[22:23], exec
	s_waitcnt vmcnt(1)
	v_readfirstlane_b32 s24, v27
	v_readfirstlane_b32 s25, v28
	s_and_b64 s[24:25], s[20:21], s[24:25]
	s_mul_i32 s15, s25, 24
	s_mul_hi_u32 s26, s24, 24
	s_mul_i32 s27, s24, 24
	s_add_i32 s15, s26, s15
	v_mov_b32_e32 v2, s15
	s_waitcnt vmcnt(0)
	v_add_co_u32_e32 v27, vcc, s27, v22
	v_addc_co_u32_e32 v28, vcc, v23, v2, vcc
	s_and_saveexec_b64 s[26:27], s[4:5]
	s_cbranch_execz .LBB3_624
; %bb.623:                              ;   in Loop: Header=BB3_561 Depth=1
	v_mov_b32_e32 v2, s22
	v_mov_b32_e32 v3, s23
	global_store_dwordx4 v[27:28], v[2:5], off offset:8
.LBB3_624:                              ;   in Loop: Header=BB3_561 Depth=1
	s_or_b64 exec, exec, s[26:27]
	s_lshl_b64 s[22:23], s[24:25], 12
	v_mov_b32_e32 v2, s23
	v_add_co_u32_e32 v24, vcc, s22, v24
	v_addc_co_u32_e32 v29, vcc, v25, v2, vcc
	v_cmp_gt_u64_e64 vcc, s[16:17], 56
	v_or_b32_e32 v2, 2, v6
	s_lshl_b32 s15, s18, 2
	v_cndmask_b32_e32 v2, v2, v6, vcc
	s_add_i32 s15, s15, 28
	s_and_b32 s15, s15, 0x1e0
	v_and_b32_e32 v2, 0xffffff1f, v2
	v_or_b32_e32 v6, s15, v2
	v_readfirstlane_b32 s22, v24
	v_readfirstlane_b32 s23, v29
	s_nop 4
	global_store_dwordx4 v39, v[6:9], s[22:23]
	global_store_dwordx4 v39, v[10:13], s[22:23] offset:16
	global_store_dwordx4 v39, v[14:17], s[22:23] offset:32
	;; [unrolled: 1-line block ×3, first 2 shown]
	s_and_saveexec_b64 s[22:23], s[4:5]
	s_cbranch_execz .LBB3_632
; %bb.625:                              ;   in Loop: Header=BB3_561 Depth=1
	global_load_dwordx2 v[10:11], v26, s[36:37] offset:32 glc
	global_load_dwordx2 v[2:3], v26, s[36:37] offset:40
	v_mov_b32_e32 v8, s20
	v_mov_b32_e32 v9, s21
	s_waitcnt vmcnt(0)
	v_readfirstlane_b32 s24, v2
	v_readfirstlane_b32 s25, v3
	s_and_b64 s[24:25], s[24:25], s[20:21]
	s_mul_i32 s15, s25, 24
	s_mul_hi_u32 s25, s24, 24
	s_mul_i32 s24, s24, 24
	s_add_i32 s15, s25, s15
	v_mov_b32_e32 v3, s15
	v_add_co_u32_e32 v2, vcc, s24, v22
	v_addc_co_u32_e32 v3, vcc, v23, v3, vcc
	global_store_dwordx2 v[2:3], v[10:11], off
	s_waitcnt vmcnt(0)
	global_atomic_cmpswap_x2 v[8:9], v26, v[8:11], s[36:37] offset:32 glc
	s_waitcnt vmcnt(0)
	v_cmp_ne_u64_e32 vcc, v[8:9], v[10:11]
	s_and_saveexec_b64 s[24:25], vcc
	s_cbranch_execz .LBB3_628
; %bb.626:                              ;   in Loop: Header=BB3_561 Depth=1
	s_mov_b64 s[26:27], 0
.LBB3_627:                              ;   Parent Loop BB3_561 Depth=1
                                        ; =>  This Inner Loop Header: Depth=2
	s_sleep 1
	global_store_dwordx2 v[2:3], v[8:9], off
	v_mov_b32_e32 v6, s20
	v_mov_b32_e32 v7, s21
	s_waitcnt vmcnt(0)
	global_atomic_cmpswap_x2 v[6:7], v26, v[6:9], s[36:37] offset:32 glc
	s_waitcnt vmcnt(0)
	v_cmp_eq_u64_e32 vcc, v[6:7], v[8:9]
	v_mov_b32_e32 v9, v7
	s_or_b64 s[26:27], vcc, s[26:27]
	v_mov_b32_e32 v8, v6
	s_andn2_b64 exec, exec, s[26:27]
	s_cbranch_execnz .LBB3_627
.LBB3_628:                              ;   in Loop: Header=BB3_561 Depth=1
	s_or_b64 exec, exec, s[24:25]
	global_load_dwordx2 v[2:3], v26, s[36:37] offset:16
	s_mov_b64 s[26:27], exec
	v_mbcnt_lo_u32_b32 v6, s26, 0
	v_mbcnt_hi_u32_b32 v6, s27, v6
	v_cmp_eq_u32_e32 vcc, 0, v6
	s_and_saveexec_b64 s[24:25], vcc
	s_cbranch_execz .LBB3_630
; %bb.629:                              ;   in Loop: Header=BB3_561 Depth=1
	s_bcnt1_i32_b64 s15, s[26:27]
	v_mov_b32_e32 v25, s15
	s_waitcnt vmcnt(0)
	global_atomic_add_x2 v[2:3], v[25:26], off offset:8
.LBB3_630:                              ;   in Loop: Header=BB3_561 Depth=1
	s_or_b64 exec, exec, s[24:25]
	s_waitcnt vmcnt(0)
	global_load_dwordx2 v[6:7], v[2:3], off offset:16
	s_waitcnt vmcnt(0)
	v_cmp_eq_u64_e32 vcc, 0, v[6:7]
	s_cbranch_vccnz .LBB3_632
; %bb.631:                              ;   in Loop: Header=BB3_561 Depth=1
	global_load_dword v25, v[2:3], off offset:24
	s_waitcnt vmcnt(0)
	v_and_b32_e32 v2, 0xffffff, v25
	v_readfirstlane_b32 m0, v2
	global_store_dwordx2 v[6:7], v[25:26], off
	s_sendmsg sendmsg(MSG_INTERRUPT)
.LBB3_632:                              ;   in Loop: Header=BB3_561 Depth=1
	s_or_b64 exec, exec, s[22:23]
	v_add_co_u32_e32 v2, vcc, v24, v39
	v_addc_co_u32_e32 v3, vcc, 0, v29, vcc
	s_branch .LBB3_636
.LBB3_633:                              ;   in Loop: Header=BB3_636 Depth=2
	s_or_b64 exec, exec, s[22:23]
	v_readfirstlane_b32 s15, v6
	s_cmp_eq_u32 s15, 0
	s_cbranch_scc1 .LBB3_635
; %bb.634:                              ;   in Loop: Header=BB3_636 Depth=2
	s_sleep 1
	s_cbranch_execnz .LBB3_636
	s_branch .LBB3_638
.LBB3_635:                              ;   in Loop: Header=BB3_561 Depth=1
	s_branch .LBB3_638
.LBB3_636:                              ;   Parent Loop BB3_561 Depth=1
                                        ; =>  This Inner Loop Header: Depth=2
	v_mov_b32_e32 v6, 1
	s_and_saveexec_b64 s[22:23], s[4:5]
	s_cbranch_execz .LBB3_633
; %bb.637:                              ;   in Loop: Header=BB3_636 Depth=2
	global_load_dword v6, v[27:28], off offset:20 glc
	s_waitcnt vmcnt(0)
	buffer_wbinvl1_vol
	v_and_b32_e32 v6, 1, v6
	s_branch .LBB3_633
.LBB3_638:                              ;   in Loop: Header=BB3_561 Depth=1
	global_load_dwordx4 v[6:9], v[2:3], off
	s_and_saveexec_b64 s[22:23], s[4:5]
	s_cbranch_execz .LBB3_560
; %bb.639:                              ;   in Loop: Header=BB3_561 Depth=1
	global_load_dwordx2 v[2:3], v26, s[36:37] offset:40
	global_load_dwordx2 v[12:13], v26, s[36:37] offset:24 glc
	global_load_dwordx2 v[14:15], v26, s[36:37]
	s_waitcnt vmcnt(3)
	v_mov_b32_e32 v9, s21
	s_waitcnt vmcnt(2)
	v_add_co_u32_e32 v10, vcc, 1, v2
	v_addc_co_u32_e32 v11, vcc, 0, v3, vcc
	v_add_co_u32_e32 v8, vcc, s20, v10
	v_addc_co_u32_e32 v9, vcc, v11, v9, vcc
	v_cmp_eq_u64_e32 vcc, 0, v[8:9]
	v_cndmask_b32_e32 v9, v9, v11, vcc
	v_cndmask_b32_e32 v8, v8, v10, vcc
	v_and_b32_e32 v3, v9, v3
	v_and_b32_e32 v2, v8, v2
	v_mul_lo_u32 v3, v3, 24
	v_mul_hi_u32 v11, v2, 24
	v_mul_lo_u32 v2, v2, 24
	s_waitcnt vmcnt(1)
	v_mov_b32_e32 v10, v12
	v_add_u32_e32 v3, v11, v3
	s_waitcnt vmcnt(0)
	v_add_co_u32_e32 v2, vcc, v14, v2
	v_addc_co_u32_e32 v3, vcc, v15, v3, vcc
	global_store_dwordx2 v[2:3], v[12:13], off
	v_mov_b32_e32 v11, v13
	s_waitcnt vmcnt(0)
	global_atomic_cmpswap_x2 v[10:11], v26, v[8:11], s[36:37] offset:24 glc
	s_waitcnt vmcnt(0)
	v_cmp_ne_u64_e32 vcc, v[10:11], v[12:13]
	s_and_b64 exec, exec, vcc
	s_cbranch_execz .LBB3_560
; %bb.640:                              ;   in Loop: Header=BB3_561 Depth=1
	s_mov_b64 s[4:5], 0
.LBB3_641:                              ;   Parent Loop BB3_561 Depth=1
                                        ; =>  This Inner Loop Header: Depth=2
	s_sleep 1
	global_store_dwordx2 v[2:3], v[10:11], off
	s_waitcnt vmcnt(0)
	global_atomic_cmpswap_x2 v[12:13], v26, v[8:11], s[36:37] offset:24 glc
	s_waitcnt vmcnt(0)
	v_cmp_eq_u64_e32 vcc, v[12:13], v[10:11]
	v_mov_b32_e32 v10, v12
	s_or_b64 s[4:5], vcc, s[4:5]
	v_mov_b32_e32 v11, v13
	s_andn2_b64 exec, exec, s[4:5]
	s_cbranch_execnz .LBB3_641
	s_branch .LBB3_560
.LBB3_642:
	s_branch .LBB3_670
.LBB3_643:
	s_cbranch_execz .LBB3_670
; %bb.644:
	v_readfirstlane_b32 s4, v50
	s_waitcnt vmcnt(0)
	v_mov_b32_e32 v8, 0
	v_mov_b32_e32 v9, 0
	v_cmp_eq_u32_e64 s[4:5], s4, v50
	s_and_saveexec_b64 s[10:11], s[4:5]
	s_cbranch_execz .LBB3_650
; %bb.645:
	v_mov_b32_e32 v2, 0
	global_load_dwordx2 v[5:6], v2, s[36:37] offset:24 glc
	s_waitcnt vmcnt(0)
	buffer_wbinvl1_vol
	global_load_dwordx2 v[3:4], v2, s[36:37] offset:40
	global_load_dwordx2 v[7:8], v2, s[36:37]
	s_waitcnt vmcnt(1)
	v_and_b32_e32 v3, v3, v5
	v_and_b32_e32 v4, v4, v6
	v_mul_lo_u32 v4, v4, 24
	v_mul_hi_u32 v9, v3, 24
	v_mul_lo_u32 v3, v3, 24
	v_add_u32_e32 v4, v9, v4
	s_waitcnt vmcnt(0)
	v_add_co_u32_e32 v3, vcc, v7, v3
	v_addc_co_u32_e32 v4, vcc, v8, v4, vcc
	global_load_dwordx2 v[3:4], v[3:4], off glc
	s_waitcnt vmcnt(0)
	global_atomic_cmpswap_x2 v[8:9], v2, v[3:6], s[36:37] offset:24 glc
	s_waitcnt vmcnt(0)
	buffer_wbinvl1_vol
	v_cmp_ne_u64_e32 vcc, v[8:9], v[5:6]
	s_and_saveexec_b64 s[16:17], vcc
	s_cbranch_execz .LBB3_649
; %bb.646:
	s_mov_b64 s[18:19], 0
.LBB3_647:                              ; =>This Inner Loop Header: Depth=1
	s_sleep 1
	global_load_dwordx2 v[3:4], v2, s[36:37] offset:40
	global_load_dwordx2 v[10:11], v2, s[36:37]
	v_mov_b32_e32 v5, v8
	v_mov_b32_e32 v6, v9
	s_waitcnt vmcnt(1)
	v_and_b32_e32 v3, v3, v5
	s_waitcnt vmcnt(0)
	v_mad_u64_u32 v[7:8], s[20:21], v3, 24, v[10:11]
	v_and_b32_e32 v4, v4, v6
	v_mov_b32_e32 v3, v8
	v_mad_u64_u32 v[3:4], s[20:21], v4, 24, v[3:4]
	v_mov_b32_e32 v8, v3
	global_load_dwordx2 v[3:4], v[7:8], off glc
	s_waitcnt vmcnt(0)
	global_atomic_cmpswap_x2 v[8:9], v2, v[3:6], s[36:37] offset:24 glc
	s_waitcnt vmcnt(0)
	buffer_wbinvl1_vol
	v_cmp_eq_u64_e32 vcc, v[8:9], v[5:6]
	s_or_b64 s[18:19], vcc, s[18:19]
	s_andn2_b64 exec, exec, s[18:19]
	s_cbranch_execnz .LBB3_647
; %bb.648:
	s_or_b64 exec, exec, s[18:19]
.LBB3_649:
	s_or_b64 exec, exec, s[16:17]
.LBB3_650:
	s_or_b64 exec, exec, s[10:11]
	v_mov_b32_e32 v2, 0
	global_load_dwordx2 v[10:11], v2, s[36:37] offset:40
	global_load_dwordx4 v[4:7], v2, s[36:37]
	v_readfirstlane_b32 s10, v8
	v_readfirstlane_b32 s11, v9
	s_mov_b64 s[16:17], exec
	s_waitcnt vmcnt(1)
	v_readfirstlane_b32 s18, v10
	v_readfirstlane_b32 s19, v11
	s_and_b64 s[18:19], s[10:11], s[18:19]
	s_mul_i32 s15, s19, 24
	s_mul_hi_u32 s20, s18, 24
	s_mul_i32 s21, s18, 24
	s_add_i32 s15, s20, s15
	v_mov_b32_e32 v3, s15
	s_waitcnt vmcnt(0)
	v_add_co_u32_e32 v8, vcc, s21, v4
	v_addc_co_u32_e32 v9, vcc, v5, v3, vcc
	s_and_saveexec_b64 s[20:21], s[4:5]
	s_cbranch_execz .LBB3_652
; %bb.651:
	v_mov_b32_e32 v10, s16
	v_mov_b32_e32 v11, s17
	;; [unrolled: 1-line block ×4, first 2 shown]
	global_store_dwordx4 v[8:9], v[10:13], off offset:8
.LBB3_652:
	s_or_b64 exec, exec, s[20:21]
	s_lshl_b64 s[16:17], s[18:19], 12
	v_mov_b32_e32 v3, s17
	v_add_co_u32_e32 v6, vcc, s16, v6
	v_addc_co_u32_e32 v7, vcc, v7, v3, vcc
	s_movk_i32 s15, 0xff1d
	v_and_or_b32 v0, v0, s15, 34
	s_mov_b32 s16, 0
	v_mov_b32_e32 v3, v2
	v_readfirstlane_b32 s20, v6
	v_readfirstlane_b32 s21, v7
	s_mov_b32 s17, s16
	s_mov_b32 s18, s16
	;; [unrolled: 1-line block ×3, first 2 shown]
	s_nop 1
	global_store_dwordx4 v39, v[0:3], s[20:21]
	s_nop 0
	v_mov_b32_e32 v0, s16
	v_mov_b32_e32 v1, s17
	;; [unrolled: 1-line block ×4, first 2 shown]
	global_store_dwordx4 v39, v[0:3], s[20:21] offset:16
	global_store_dwordx4 v39, v[0:3], s[20:21] offset:32
	;; [unrolled: 1-line block ×3, first 2 shown]
	s_and_saveexec_b64 s[16:17], s[4:5]
	s_cbranch_execz .LBB3_660
; %bb.653:
	v_mov_b32_e32 v6, 0
	global_load_dwordx2 v[12:13], v6, s[36:37] offset:32 glc
	global_load_dwordx2 v[0:1], v6, s[36:37] offset:40
	v_mov_b32_e32 v10, s10
	v_mov_b32_e32 v11, s11
	s_waitcnt vmcnt(0)
	v_readfirstlane_b32 s18, v0
	v_readfirstlane_b32 s19, v1
	s_and_b64 s[18:19], s[18:19], s[10:11]
	s_mul_i32 s15, s19, 24
	s_mul_hi_u32 s19, s18, 24
	s_mul_i32 s18, s18, 24
	s_add_i32 s15, s19, s15
	v_mov_b32_e32 v0, s15
	v_add_co_u32_e32 v4, vcc, s18, v4
	v_addc_co_u32_e32 v5, vcc, v5, v0, vcc
	global_store_dwordx2 v[4:5], v[12:13], off
	s_waitcnt vmcnt(0)
	global_atomic_cmpswap_x2 v[2:3], v6, v[10:13], s[36:37] offset:32 glc
	s_waitcnt vmcnt(0)
	v_cmp_ne_u64_e32 vcc, v[2:3], v[12:13]
	s_and_saveexec_b64 s[18:19], vcc
	s_cbranch_execz .LBB3_656
; %bb.654:
	s_mov_b64 s[20:21], 0
.LBB3_655:                              ; =>This Inner Loop Header: Depth=1
	s_sleep 1
	global_store_dwordx2 v[4:5], v[2:3], off
	v_mov_b32_e32 v0, s10
	v_mov_b32_e32 v1, s11
	s_waitcnt vmcnt(0)
	global_atomic_cmpswap_x2 v[0:1], v6, v[0:3], s[36:37] offset:32 glc
	s_waitcnt vmcnt(0)
	v_cmp_eq_u64_e32 vcc, v[0:1], v[2:3]
	v_mov_b32_e32 v3, v1
	s_or_b64 s[20:21], vcc, s[20:21]
	v_mov_b32_e32 v2, v0
	s_andn2_b64 exec, exec, s[20:21]
	s_cbranch_execnz .LBB3_655
.LBB3_656:
	s_or_b64 exec, exec, s[18:19]
	v_mov_b32_e32 v3, 0
	global_load_dwordx2 v[0:1], v3, s[36:37] offset:16
	s_mov_b64 s[18:19], exec
	v_mbcnt_lo_u32_b32 v2, s18, 0
	v_mbcnt_hi_u32_b32 v2, s19, v2
	v_cmp_eq_u32_e32 vcc, 0, v2
	s_and_saveexec_b64 s[20:21], vcc
	s_cbranch_execz .LBB3_658
; %bb.657:
	s_bcnt1_i32_b64 s15, s[18:19]
	v_mov_b32_e32 v2, s15
	s_waitcnt vmcnt(0)
	global_atomic_add_x2 v[0:1], v[2:3], off offset:8
.LBB3_658:
	s_or_b64 exec, exec, s[20:21]
	s_waitcnt vmcnt(0)
	global_load_dwordx2 v[2:3], v[0:1], off offset:16
	s_waitcnt vmcnt(0)
	v_cmp_eq_u64_e32 vcc, 0, v[2:3]
	s_cbranch_vccnz .LBB3_660
; %bb.659:
	global_load_dword v0, v[0:1], off offset:24
	v_mov_b32_e32 v1, 0
	s_waitcnt vmcnt(0)
	global_store_dwordx2 v[2:3], v[0:1], off
	v_and_b32_e32 v0, 0xffffff, v0
	v_readfirstlane_b32 m0, v0
	s_sendmsg sendmsg(MSG_INTERRUPT)
.LBB3_660:
	s_or_b64 exec, exec, s[16:17]
	s_branch .LBB3_664
.LBB3_661:                              ;   in Loop: Header=BB3_664 Depth=1
	s_or_b64 exec, exec, s[16:17]
	v_readfirstlane_b32 s15, v0
	s_cmp_eq_u32 s15, 0
	s_cbranch_scc1 .LBB3_663
; %bb.662:                              ;   in Loop: Header=BB3_664 Depth=1
	s_sleep 1
	s_cbranch_execnz .LBB3_664
	s_branch .LBB3_666
.LBB3_663:
	s_branch .LBB3_666
.LBB3_664:                              ; =>This Inner Loop Header: Depth=1
	v_mov_b32_e32 v0, 1
	s_and_saveexec_b64 s[16:17], s[4:5]
	s_cbranch_execz .LBB3_661
; %bb.665:                              ;   in Loop: Header=BB3_664 Depth=1
	global_load_dword v0, v[8:9], off offset:20 glc
	s_waitcnt vmcnt(0)
	buffer_wbinvl1_vol
	v_and_b32_e32 v0, 1, v0
	s_branch .LBB3_661
.LBB3_666:
	s_and_saveexec_b64 s[16:17], s[4:5]
	s_cbranch_execz .LBB3_669
; %bb.667:
	v_mov_b32_e32 v6, 0
	global_load_dwordx2 v[2:3], v6, s[36:37] offset:40
	global_load_dwordx2 v[7:8], v6, s[36:37] offset:24 glc
	global_load_dwordx2 v[4:5], v6, s[36:37]
	v_mov_b32_e32 v1, s11
	s_mov_b64 s[4:5], 0
	s_waitcnt vmcnt(2)
	v_add_co_u32_e32 v9, vcc, 1, v2
	v_addc_co_u32_e32 v10, vcc, 0, v3, vcc
	v_add_co_u32_e32 v0, vcc, s10, v9
	v_addc_co_u32_e32 v1, vcc, v10, v1, vcc
	v_cmp_eq_u64_e32 vcc, 0, v[0:1]
	v_cndmask_b32_e32 v1, v1, v10, vcc
	v_cndmask_b32_e32 v0, v0, v9, vcc
	v_and_b32_e32 v3, v1, v3
	v_and_b32_e32 v2, v0, v2
	v_mul_lo_u32 v3, v3, 24
	v_mul_hi_u32 v9, v2, 24
	v_mul_lo_u32 v10, v2, 24
	s_waitcnt vmcnt(1)
	v_mov_b32_e32 v2, v7
	v_add_u32_e32 v3, v9, v3
	s_waitcnt vmcnt(0)
	v_add_co_u32_e32 v4, vcc, v4, v10
	v_addc_co_u32_e32 v5, vcc, v5, v3, vcc
	global_store_dwordx2 v[4:5], v[7:8], off
	v_mov_b32_e32 v3, v8
	s_waitcnt vmcnt(0)
	global_atomic_cmpswap_x2 v[2:3], v6, v[0:3], s[36:37] offset:24 glc
	s_waitcnt vmcnt(0)
	v_cmp_ne_u64_e32 vcc, v[2:3], v[7:8]
	s_and_b64 exec, exec, vcc
	s_cbranch_execz .LBB3_669
.LBB3_668:                              ; =>This Inner Loop Header: Depth=1
	s_sleep 1
	global_store_dwordx2 v[4:5], v[2:3], off
	s_waitcnt vmcnt(0)
	global_atomic_cmpswap_x2 v[7:8], v6, v[0:3], s[36:37] offset:24 glc
	s_waitcnt vmcnt(0)
	v_cmp_eq_u64_e32 vcc, v[7:8], v[2:3]
	v_mov_b32_e32 v2, v7
	s_or_b64 s[4:5], vcc, s[4:5]
	v_mov_b32_e32 v3, v8
	s_andn2_b64 exec, exec, s[4:5]
	s_cbranch_execnz .LBB3_668
.LBB3_669:
	s_or_b64 exec, exec, s[16:17]
.LBB3_670:
	v_readfirstlane_b32 s4, v50
	s_waitcnt vmcnt(0)
	v_mov_b32_e32 v5, 0
	v_mov_b32_e32 v6, 0
	v_cmp_eq_u32_e64 s[4:5], s4, v50
	s_and_saveexec_b64 s[10:11], s[4:5]
	s_cbranch_execz .LBB3_676
; %bb.671:
	v_mov_b32_e32 v0, 0
	global_load_dwordx2 v[3:4], v0, s[36:37] offset:24 glc
	s_waitcnt vmcnt(0)
	buffer_wbinvl1_vol
	global_load_dwordx2 v[1:2], v0, s[36:37] offset:40
	global_load_dwordx2 v[5:6], v0, s[36:37]
	s_waitcnt vmcnt(1)
	v_and_b32_e32 v1, v1, v3
	v_and_b32_e32 v2, v2, v4
	v_mul_lo_u32 v2, v2, 24
	v_mul_hi_u32 v7, v1, 24
	v_mul_lo_u32 v1, v1, 24
	v_add_u32_e32 v2, v7, v2
	s_waitcnt vmcnt(0)
	v_add_co_u32_e32 v1, vcc, v5, v1
	v_addc_co_u32_e32 v2, vcc, v6, v2, vcc
	global_load_dwordx2 v[1:2], v[1:2], off glc
	s_waitcnt vmcnt(0)
	global_atomic_cmpswap_x2 v[5:6], v0, v[1:4], s[36:37] offset:24 glc
	s_waitcnt vmcnt(0)
	buffer_wbinvl1_vol
	v_cmp_ne_u64_e32 vcc, v[5:6], v[3:4]
	s_and_saveexec_b64 s[16:17], vcc
	s_cbranch_execz .LBB3_675
; %bb.672:
	s_mov_b64 s[18:19], 0
.LBB3_673:                              ; =>This Inner Loop Header: Depth=1
	s_sleep 1
	global_load_dwordx2 v[1:2], v0, s[36:37] offset:40
	global_load_dwordx2 v[7:8], v0, s[36:37]
	v_mov_b32_e32 v3, v5
	v_mov_b32_e32 v4, v6
	s_waitcnt vmcnt(1)
	v_and_b32_e32 v1, v1, v3
	s_waitcnt vmcnt(0)
	v_mad_u64_u32 v[5:6], s[20:21], v1, 24, v[7:8]
	v_and_b32_e32 v2, v2, v4
	v_mov_b32_e32 v1, v6
	v_mad_u64_u32 v[1:2], s[20:21], v2, 24, v[1:2]
	v_mov_b32_e32 v6, v1
	global_load_dwordx2 v[1:2], v[5:6], off glc
	s_waitcnt vmcnt(0)
	global_atomic_cmpswap_x2 v[5:6], v0, v[1:4], s[36:37] offset:24 glc
	s_waitcnt vmcnt(0)
	buffer_wbinvl1_vol
	v_cmp_eq_u64_e32 vcc, v[5:6], v[3:4]
	s_or_b64 s[18:19], vcc, s[18:19]
	s_andn2_b64 exec, exec, s[18:19]
	s_cbranch_execnz .LBB3_673
; %bb.674:
	s_or_b64 exec, exec, s[18:19]
.LBB3_675:
	s_or_b64 exec, exec, s[16:17]
.LBB3_676:
	s_or_b64 exec, exec, s[10:11]
	v_mov_b32_e32 v4, 0
	global_load_dwordx2 v[7:8], v4, s[36:37] offset:40
	global_load_dwordx4 v[0:3], v4, s[36:37]
	v_readfirstlane_b32 s10, v5
	v_readfirstlane_b32 s11, v6
	s_mov_b64 s[16:17], exec
	s_waitcnt vmcnt(1)
	v_readfirstlane_b32 s18, v7
	v_readfirstlane_b32 s19, v8
	s_and_b64 s[18:19], s[10:11], s[18:19]
	s_mul_i32 s15, s19, 24
	s_mul_hi_u32 s20, s18, 24
	s_mul_i32 s21, s18, 24
	s_add_i32 s15, s20, s15
	v_mov_b32_e32 v5, s15
	s_waitcnt vmcnt(0)
	v_add_co_u32_e32 v7, vcc, s21, v0
	v_addc_co_u32_e32 v8, vcc, v1, v5, vcc
	s_and_saveexec_b64 s[20:21], s[4:5]
	s_cbranch_execz .LBB3_678
; %bb.677:
	v_mov_b32_e32 v9, s16
	v_mov_b32_e32 v10, s17
	;; [unrolled: 1-line block ×4, first 2 shown]
	global_store_dwordx4 v[7:8], v[9:12], off offset:8
.LBB3_678:
	s_or_b64 exec, exec, s[20:21]
	s_lshl_b64 s[16:17], s[18:19], 12
	v_mov_b32_e32 v5, s17
	v_add_co_u32_e32 v2, vcc, s16, v2
	v_addc_co_u32_e32 v11, vcc, v3, v5, vcc
	s_mov_b32 s16, 0
	v_mov_b32_e32 v3, 33
	v_mov_b32_e32 v5, v4
	v_mov_b32_e32 v6, v4
	v_readfirstlane_b32 s20, v2
	v_readfirstlane_b32 s21, v11
	v_add_co_u32_e32 v9, vcc, v2, v39
	s_mov_b32 s17, s16
	s_mov_b32 s18, s16
	;; [unrolled: 1-line block ×3, first 2 shown]
	s_nop 0
	global_store_dwordx4 v39, v[3:6], s[20:21]
	v_mov_b32_e32 v2, s16
	v_addc_co_u32_e32 v10, vcc, 0, v11, vcc
	v_mov_b32_e32 v3, s17
	v_mov_b32_e32 v4, s18
	;; [unrolled: 1-line block ×3, first 2 shown]
	global_store_dwordx4 v39, v[2:5], s[20:21] offset:16
	global_store_dwordx4 v39, v[2:5], s[20:21] offset:32
	;; [unrolled: 1-line block ×3, first 2 shown]
	s_and_saveexec_b64 s[16:17], s[4:5]
	s_cbranch_execz .LBB3_686
; %bb.679:
	v_mov_b32_e32 v6, 0
	global_load_dwordx2 v[13:14], v6, s[36:37] offset:32 glc
	global_load_dwordx2 v[2:3], v6, s[36:37] offset:40
	v_mov_b32_e32 v11, s10
	v_mov_b32_e32 v12, s11
	s_waitcnt vmcnt(0)
	v_readfirstlane_b32 s18, v2
	v_readfirstlane_b32 s19, v3
	s_and_b64 s[18:19], s[18:19], s[10:11]
	s_mul_i32 s15, s19, 24
	s_mul_hi_u32 s19, s18, 24
	s_mul_i32 s18, s18, 24
	s_add_i32 s15, s19, s15
	v_mov_b32_e32 v2, s15
	v_add_co_u32_e32 v4, vcc, s18, v0
	v_addc_co_u32_e32 v5, vcc, v1, v2, vcc
	global_store_dwordx2 v[4:5], v[13:14], off
	s_waitcnt vmcnt(0)
	global_atomic_cmpswap_x2 v[2:3], v6, v[11:14], s[36:37] offset:32 glc
	s_waitcnt vmcnt(0)
	v_cmp_ne_u64_e32 vcc, v[2:3], v[13:14]
	s_and_saveexec_b64 s[18:19], vcc
	s_cbranch_execz .LBB3_682
; %bb.680:
	s_mov_b64 s[20:21], 0
.LBB3_681:                              ; =>This Inner Loop Header: Depth=1
	s_sleep 1
	global_store_dwordx2 v[4:5], v[2:3], off
	v_mov_b32_e32 v0, s10
	v_mov_b32_e32 v1, s11
	s_waitcnt vmcnt(0)
	global_atomic_cmpswap_x2 v[0:1], v6, v[0:3], s[36:37] offset:32 glc
	s_waitcnt vmcnt(0)
	v_cmp_eq_u64_e32 vcc, v[0:1], v[2:3]
	v_mov_b32_e32 v3, v1
	s_or_b64 s[20:21], vcc, s[20:21]
	v_mov_b32_e32 v2, v0
	s_andn2_b64 exec, exec, s[20:21]
	s_cbranch_execnz .LBB3_681
.LBB3_682:
	s_or_b64 exec, exec, s[18:19]
	v_mov_b32_e32 v3, 0
	global_load_dwordx2 v[0:1], v3, s[36:37] offset:16
	s_mov_b64 s[18:19], exec
	v_mbcnt_lo_u32_b32 v2, s18, 0
	v_mbcnt_hi_u32_b32 v2, s19, v2
	v_cmp_eq_u32_e32 vcc, 0, v2
	s_and_saveexec_b64 s[20:21], vcc
	s_cbranch_execz .LBB3_684
; %bb.683:
	s_bcnt1_i32_b64 s15, s[18:19]
	v_mov_b32_e32 v2, s15
	s_waitcnt vmcnt(0)
	global_atomic_add_x2 v[0:1], v[2:3], off offset:8
.LBB3_684:
	s_or_b64 exec, exec, s[20:21]
	s_waitcnt vmcnt(0)
	global_load_dwordx2 v[2:3], v[0:1], off offset:16
	s_waitcnt vmcnt(0)
	v_cmp_eq_u64_e32 vcc, 0, v[2:3]
	s_cbranch_vccnz .LBB3_686
; %bb.685:
	global_load_dword v0, v[0:1], off offset:24
	v_mov_b32_e32 v1, 0
	s_waitcnt vmcnt(0)
	global_store_dwordx2 v[2:3], v[0:1], off
	v_and_b32_e32 v0, 0xffffff, v0
	v_readfirstlane_b32 m0, v0
	s_sendmsg sendmsg(MSG_INTERRUPT)
.LBB3_686:
	s_or_b64 exec, exec, s[16:17]
	s_branch .LBB3_690
.LBB3_687:                              ;   in Loop: Header=BB3_690 Depth=1
	s_or_b64 exec, exec, s[16:17]
	v_readfirstlane_b32 s15, v0
	s_cmp_eq_u32 s15, 0
	s_cbranch_scc1 .LBB3_689
; %bb.688:                              ;   in Loop: Header=BB3_690 Depth=1
	s_sleep 1
	s_cbranch_execnz .LBB3_690
	s_branch .LBB3_692
.LBB3_689:
	s_branch .LBB3_692
.LBB3_690:                              ; =>This Inner Loop Header: Depth=1
	v_mov_b32_e32 v0, 1
	s_and_saveexec_b64 s[16:17], s[4:5]
	s_cbranch_execz .LBB3_687
; %bb.691:                              ;   in Loop: Header=BB3_690 Depth=1
	global_load_dword v0, v[7:8], off offset:20 glc
	s_waitcnt vmcnt(0)
	buffer_wbinvl1_vol
	v_and_b32_e32 v0, 1, v0
	s_branch .LBB3_687
.LBB3_692:
	global_load_dwordx2 v[0:1], v[9:10], off
	s_and_saveexec_b64 s[16:17], s[4:5]
	s_cbranch_execz .LBB3_695
; %bb.693:
	v_mov_b32_e32 v8, 0
	global_load_dwordx2 v[4:5], v8, s[36:37] offset:40
	global_load_dwordx2 v[9:10], v8, s[36:37] offset:24 glc
	global_load_dwordx2 v[6:7], v8, s[36:37]
	v_mov_b32_e32 v3, s11
	s_mov_b64 s[4:5], 0
	s_waitcnt vmcnt(2)
	v_add_co_u32_e32 v11, vcc, 1, v4
	v_addc_co_u32_e32 v12, vcc, 0, v5, vcc
	v_add_co_u32_e32 v2, vcc, s10, v11
	v_addc_co_u32_e32 v3, vcc, v12, v3, vcc
	v_cmp_eq_u64_e32 vcc, 0, v[2:3]
	v_cndmask_b32_e32 v3, v3, v12, vcc
	v_cndmask_b32_e32 v2, v2, v11, vcc
	v_and_b32_e32 v5, v3, v5
	v_and_b32_e32 v4, v2, v4
	v_mul_lo_u32 v5, v5, 24
	v_mul_hi_u32 v11, v4, 24
	v_mul_lo_u32 v12, v4, 24
	s_waitcnt vmcnt(1)
	v_mov_b32_e32 v4, v9
	v_add_u32_e32 v5, v11, v5
	s_waitcnt vmcnt(0)
	v_add_co_u32_e32 v6, vcc, v6, v12
	v_addc_co_u32_e32 v7, vcc, v7, v5, vcc
	global_store_dwordx2 v[6:7], v[9:10], off
	v_mov_b32_e32 v5, v10
	s_waitcnt vmcnt(0)
	global_atomic_cmpswap_x2 v[4:5], v8, v[2:5], s[36:37] offset:24 glc
	s_waitcnt vmcnt(0)
	v_cmp_ne_u64_e32 vcc, v[4:5], v[9:10]
	s_and_b64 exec, exec, vcc
	s_cbranch_execz .LBB3_695
.LBB3_694:                              ; =>This Inner Loop Header: Depth=1
	s_sleep 1
	global_store_dwordx2 v[6:7], v[4:5], off
	s_waitcnt vmcnt(0)
	global_atomic_cmpswap_x2 v[9:10], v8, v[2:5], s[36:37] offset:24 glc
	s_waitcnt vmcnt(0)
	v_cmp_eq_u64_e32 vcc, v[9:10], v[4:5]
	v_mov_b32_e32 v4, v9
	s_or_b64 s[4:5], vcc, s[4:5]
	v_mov_b32_e32 v5, v10
	s_andn2_b64 exec, exec, s[4:5]
	s_cbranch_execnz .LBB3_694
.LBB3_695:
	s_or_b64 exec, exec, s[16:17]
	s_and_b64 vcc, exec, s[40:41]
	s_cbranch_vccz .LBB3_780
; %bb.696:
	s_waitcnt vmcnt(0)
	v_and_b32_e32 v31, 2, v0
	v_mov_b32_e32 v28, 0
	v_and_b32_e32 v2, -3, v0
	v_mov_b32_e32 v3, v1
	s_mov_b64 s[16:17], 3
	v_mov_b32_e32 v6, 2
	v_mov_b32_e32 v7, 1
	s_getpc_b64 s[10:11]
	s_add_u32 s10, s10, .str.6@rel32@lo+4
	s_addc_u32 s11, s11, .str.6@rel32@hi+12
	s_branch .LBB3_698
.LBB3_697:                              ;   in Loop: Header=BB3_698 Depth=1
	s_or_b64 exec, exec, s[22:23]
	s_sub_u32 s16, s16, s18
	s_subb_u32 s17, s17, s19
	s_add_u32 s10, s10, s18
	s_addc_u32 s11, s11, s19
	s_cmp_lg_u64 s[16:17], 0
	s_cbranch_scc0 .LBB3_779
.LBB3_698:                              ; =>This Loop Header: Depth=1
                                        ;     Child Loop BB3_701 Depth 2
                                        ;     Child Loop BB3_708 Depth 2
	;; [unrolled: 1-line block ×11, first 2 shown]
	v_cmp_lt_u64_e64 s[4:5], s[16:17], 56
	v_cmp_gt_u64_e64 s[20:21], s[16:17], 7
	s_and_b64 s[4:5], s[4:5], exec
	s_cselect_b32 s19, s17, 0
	s_cselect_b32 s18, s16, 56
	s_and_b64 vcc, exec, s[20:21]
	s_cbranch_vccnz .LBB3_703
; %bb.699:                              ;   in Loop: Header=BB3_698 Depth=1
	v_mov_b32_e32 v10, 0
	s_cmp_eq_u64 s[16:17], 0
	v_mov_b32_e32 v11, 0
	s_mov_b64 s[4:5], 0
	s_cbranch_scc1 .LBB3_702
; %bb.700:                              ;   in Loop: Header=BB3_698 Depth=1
	v_mov_b32_e32 v10, 0
	s_lshl_b64 s[20:21], s[18:19], 3
	s_mov_b64 s[22:23], 0
	v_mov_b32_e32 v11, 0
	s_mov_b64 s[24:25], s[10:11]
.LBB3_701:                              ;   Parent Loop BB3_698 Depth=1
                                        ; =>  This Inner Loop Header: Depth=2
	global_load_ubyte v4, v28, s[24:25]
	s_waitcnt vmcnt(0)
	v_and_b32_e32 v27, 0xffff, v4
	v_lshlrev_b64 v[4:5], s22, v[27:28]
	s_add_u32 s22, s22, 8
	s_addc_u32 s23, s23, 0
	s_add_u32 s24, s24, 1
	s_addc_u32 s25, s25, 0
	v_or_b32_e32 v10, v4, v10
	s_cmp_lg_u32 s20, s22
	v_or_b32_e32 v11, v5, v11
	s_cbranch_scc1 .LBB3_701
.LBB3_702:                              ;   in Loop: Header=BB3_698 Depth=1
	s_mov_b32 s15, 0
	s_andn2_b64 vcc, exec, s[4:5]
	s_mov_b64 s[4:5], s[10:11]
	s_cbranch_vccz .LBB3_704
	s_branch .LBB3_705
.LBB3_703:                              ;   in Loop: Header=BB3_698 Depth=1
                                        ; implicit-def: $vgpr10_vgpr11
                                        ; implicit-def: $sgpr15
	s_mov_b64 s[4:5], s[10:11]
.LBB3_704:                              ;   in Loop: Header=BB3_698 Depth=1
	global_load_dwordx2 v[10:11], v28, s[10:11]
	s_add_i32 s15, s18, -8
	s_add_u32 s4, s10, 8
	s_addc_u32 s5, s11, 0
.LBB3_705:                              ;   in Loop: Header=BB3_698 Depth=1
	s_cmp_gt_u32 s15, 7
	s_cbranch_scc1 .LBB3_709
; %bb.706:                              ;   in Loop: Header=BB3_698 Depth=1
	s_cmp_eq_u32 s15, 0
	s_cbranch_scc1 .LBB3_710
; %bb.707:                              ;   in Loop: Header=BB3_698 Depth=1
	v_mov_b32_e32 v12, 0
	s_mov_b64 s[20:21], 0
	v_mov_b32_e32 v13, 0
	s_mov_b64 s[22:23], 0
.LBB3_708:                              ;   Parent Loop BB3_698 Depth=1
                                        ; =>  This Inner Loop Header: Depth=2
	s_add_u32 s24, s4, s22
	s_addc_u32 s25, s5, s23
	global_load_ubyte v4, v28, s[24:25]
	s_add_u32 s22, s22, 1
	s_addc_u32 s23, s23, 0
	s_waitcnt vmcnt(0)
	v_and_b32_e32 v27, 0xffff, v4
	v_lshlrev_b64 v[4:5], s20, v[27:28]
	s_add_u32 s20, s20, 8
	s_addc_u32 s21, s21, 0
	v_or_b32_e32 v12, v4, v12
	s_cmp_lg_u32 s15, s22
	v_or_b32_e32 v13, v5, v13
	s_cbranch_scc1 .LBB3_708
	s_branch .LBB3_711
.LBB3_709:                              ;   in Loop: Header=BB3_698 Depth=1
                                        ; implicit-def: $vgpr12_vgpr13
                                        ; implicit-def: $sgpr24
	s_branch .LBB3_712
.LBB3_710:                              ;   in Loop: Header=BB3_698 Depth=1
	v_mov_b32_e32 v12, 0
	v_mov_b32_e32 v13, 0
.LBB3_711:                              ;   in Loop: Header=BB3_698 Depth=1
	s_mov_b32 s24, 0
	s_cbranch_execnz .LBB3_713
.LBB3_712:                              ;   in Loop: Header=BB3_698 Depth=1
	global_load_dwordx2 v[12:13], v28, s[4:5]
	s_add_i32 s24, s15, -8
	s_add_u32 s4, s4, 8
	s_addc_u32 s5, s5, 0
.LBB3_713:                              ;   in Loop: Header=BB3_698 Depth=1
	s_cmp_gt_u32 s24, 7
	s_cbranch_scc1 .LBB3_717
; %bb.714:                              ;   in Loop: Header=BB3_698 Depth=1
	s_cmp_eq_u32 s24, 0
	s_cbranch_scc1 .LBB3_718
; %bb.715:                              ;   in Loop: Header=BB3_698 Depth=1
	v_mov_b32_e32 v14, 0
	s_mov_b64 s[20:21], 0
	v_mov_b32_e32 v15, 0
	s_mov_b64 s[22:23], 0
.LBB3_716:                              ;   Parent Loop BB3_698 Depth=1
                                        ; =>  This Inner Loop Header: Depth=2
	s_add_u32 s26, s4, s22
	s_addc_u32 s27, s5, s23
	global_load_ubyte v4, v28, s[26:27]
	s_add_u32 s22, s22, 1
	s_addc_u32 s23, s23, 0
	s_waitcnt vmcnt(0)
	v_and_b32_e32 v27, 0xffff, v4
	v_lshlrev_b64 v[4:5], s20, v[27:28]
	s_add_u32 s20, s20, 8
	s_addc_u32 s21, s21, 0
	v_or_b32_e32 v14, v4, v14
	s_cmp_lg_u32 s24, s22
	v_or_b32_e32 v15, v5, v15
	s_cbranch_scc1 .LBB3_716
	s_branch .LBB3_719
.LBB3_717:                              ;   in Loop: Header=BB3_698 Depth=1
                                        ; implicit-def: $sgpr15
	s_branch .LBB3_720
.LBB3_718:                              ;   in Loop: Header=BB3_698 Depth=1
	v_mov_b32_e32 v14, 0
	v_mov_b32_e32 v15, 0
.LBB3_719:                              ;   in Loop: Header=BB3_698 Depth=1
	s_mov_b32 s15, 0
	s_cbranch_execnz .LBB3_721
.LBB3_720:                              ;   in Loop: Header=BB3_698 Depth=1
	global_load_dwordx2 v[14:15], v28, s[4:5]
	s_add_i32 s15, s24, -8
	s_add_u32 s4, s4, 8
	s_addc_u32 s5, s5, 0
.LBB3_721:                              ;   in Loop: Header=BB3_698 Depth=1
	s_cmp_gt_u32 s15, 7
	s_cbranch_scc1 .LBB3_725
; %bb.722:                              ;   in Loop: Header=BB3_698 Depth=1
	s_cmp_eq_u32 s15, 0
	s_cbranch_scc1 .LBB3_726
; %bb.723:                              ;   in Loop: Header=BB3_698 Depth=1
	v_mov_b32_e32 v16, 0
	s_mov_b64 s[20:21], 0
	v_mov_b32_e32 v17, 0
	s_mov_b64 s[22:23], 0
.LBB3_724:                              ;   Parent Loop BB3_698 Depth=1
                                        ; =>  This Inner Loop Header: Depth=2
	s_add_u32 s24, s4, s22
	s_addc_u32 s25, s5, s23
	global_load_ubyte v4, v28, s[24:25]
	s_add_u32 s22, s22, 1
	s_addc_u32 s23, s23, 0
	s_waitcnt vmcnt(0)
	v_and_b32_e32 v27, 0xffff, v4
	v_lshlrev_b64 v[4:5], s20, v[27:28]
	s_add_u32 s20, s20, 8
	s_addc_u32 s21, s21, 0
	v_or_b32_e32 v16, v4, v16
	s_cmp_lg_u32 s15, s22
	v_or_b32_e32 v17, v5, v17
	s_cbranch_scc1 .LBB3_724
	s_branch .LBB3_727
.LBB3_725:                              ;   in Loop: Header=BB3_698 Depth=1
                                        ; implicit-def: $vgpr16_vgpr17
                                        ; implicit-def: $sgpr24
	s_branch .LBB3_728
.LBB3_726:                              ;   in Loop: Header=BB3_698 Depth=1
	v_mov_b32_e32 v16, 0
	v_mov_b32_e32 v17, 0
.LBB3_727:                              ;   in Loop: Header=BB3_698 Depth=1
	s_mov_b32 s24, 0
	s_cbranch_execnz .LBB3_729
.LBB3_728:                              ;   in Loop: Header=BB3_698 Depth=1
	global_load_dwordx2 v[16:17], v28, s[4:5]
	s_add_i32 s24, s15, -8
	s_add_u32 s4, s4, 8
	s_addc_u32 s5, s5, 0
.LBB3_729:                              ;   in Loop: Header=BB3_698 Depth=1
	s_cmp_gt_u32 s24, 7
	s_cbranch_scc1 .LBB3_733
; %bb.730:                              ;   in Loop: Header=BB3_698 Depth=1
	s_cmp_eq_u32 s24, 0
	s_cbranch_scc1 .LBB3_734
; %bb.731:                              ;   in Loop: Header=BB3_698 Depth=1
	v_mov_b32_e32 v18, 0
	s_mov_b64 s[20:21], 0
	v_mov_b32_e32 v19, 0
	s_mov_b64 s[22:23], 0
.LBB3_732:                              ;   Parent Loop BB3_698 Depth=1
                                        ; =>  This Inner Loop Header: Depth=2
	s_add_u32 s26, s4, s22
	s_addc_u32 s27, s5, s23
	global_load_ubyte v4, v28, s[26:27]
	s_add_u32 s22, s22, 1
	s_addc_u32 s23, s23, 0
	s_waitcnt vmcnt(0)
	v_and_b32_e32 v27, 0xffff, v4
	v_lshlrev_b64 v[4:5], s20, v[27:28]
	s_add_u32 s20, s20, 8
	s_addc_u32 s21, s21, 0
	v_or_b32_e32 v18, v4, v18
	s_cmp_lg_u32 s24, s22
	v_or_b32_e32 v19, v5, v19
	s_cbranch_scc1 .LBB3_732
	s_branch .LBB3_735
.LBB3_733:                              ;   in Loop: Header=BB3_698 Depth=1
                                        ; implicit-def: $sgpr15
	s_branch .LBB3_736
.LBB3_734:                              ;   in Loop: Header=BB3_698 Depth=1
	v_mov_b32_e32 v18, 0
	v_mov_b32_e32 v19, 0
.LBB3_735:                              ;   in Loop: Header=BB3_698 Depth=1
	s_mov_b32 s15, 0
	s_cbranch_execnz .LBB3_737
.LBB3_736:                              ;   in Loop: Header=BB3_698 Depth=1
	global_load_dwordx2 v[18:19], v28, s[4:5]
	s_add_i32 s15, s24, -8
	s_add_u32 s4, s4, 8
	s_addc_u32 s5, s5, 0
.LBB3_737:                              ;   in Loop: Header=BB3_698 Depth=1
	s_cmp_gt_u32 s15, 7
	s_cbranch_scc1 .LBB3_741
; %bb.738:                              ;   in Loop: Header=BB3_698 Depth=1
	s_cmp_eq_u32 s15, 0
	s_cbranch_scc1 .LBB3_742
; %bb.739:                              ;   in Loop: Header=BB3_698 Depth=1
	v_mov_b32_e32 v20, 0
	s_mov_b64 s[20:21], 0
	v_mov_b32_e32 v21, 0
	s_mov_b64 s[22:23], 0
.LBB3_740:                              ;   Parent Loop BB3_698 Depth=1
                                        ; =>  This Inner Loop Header: Depth=2
	s_add_u32 s24, s4, s22
	s_addc_u32 s25, s5, s23
	global_load_ubyte v4, v28, s[24:25]
	s_add_u32 s22, s22, 1
	s_addc_u32 s23, s23, 0
	s_waitcnt vmcnt(0)
	v_and_b32_e32 v27, 0xffff, v4
	v_lshlrev_b64 v[4:5], s20, v[27:28]
	s_add_u32 s20, s20, 8
	s_addc_u32 s21, s21, 0
	v_or_b32_e32 v20, v4, v20
	s_cmp_lg_u32 s15, s22
	v_or_b32_e32 v21, v5, v21
	s_cbranch_scc1 .LBB3_740
	s_branch .LBB3_743
.LBB3_741:                              ;   in Loop: Header=BB3_698 Depth=1
                                        ; implicit-def: $vgpr20_vgpr21
                                        ; implicit-def: $sgpr24
	s_branch .LBB3_744
.LBB3_742:                              ;   in Loop: Header=BB3_698 Depth=1
	v_mov_b32_e32 v20, 0
	v_mov_b32_e32 v21, 0
.LBB3_743:                              ;   in Loop: Header=BB3_698 Depth=1
	s_mov_b32 s24, 0
	s_cbranch_execnz .LBB3_745
.LBB3_744:                              ;   in Loop: Header=BB3_698 Depth=1
	global_load_dwordx2 v[20:21], v28, s[4:5]
	s_add_i32 s24, s15, -8
	s_add_u32 s4, s4, 8
	s_addc_u32 s5, s5, 0
.LBB3_745:                              ;   in Loop: Header=BB3_698 Depth=1
	s_cmp_gt_u32 s24, 7
	s_cbranch_scc1 .LBB3_749
; %bb.746:                              ;   in Loop: Header=BB3_698 Depth=1
	s_cmp_eq_u32 s24, 0
	s_cbranch_scc1 .LBB3_750
; %bb.747:                              ;   in Loop: Header=BB3_698 Depth=1
	v_mov_b32_e32 v22, 0
	s_mov_b64 s[20:21], 0
	v_mov_b32_e32 v23, 0
	s_mov_b64 s[22:23], s[4:5]
.LBB3_748:                              ;   Parent Loop BB3_698 Depth=1
                                        ; =>  This Inner Loop Header: Depth=2
	global_load_ubyte v4, v28, s[22:23]
	s_add_i32 s24, s24, -1
	s_waitcnt vmcnt(0)
	v_and_b32_e32 v27, 0xffff, v4
	v_lshlrev_b64 v[4:5], s20, v[27:28]
	s_add_u32 s20, s20, 8
	s_addc_u32 s21, s21, 0
	s_add_u32 s22, s22, 1
	s_addc_u32 s23, s23, 0
	v_or_b32_e32 v22, v4, v22
	s_cmp_lg_u32 s24, 0
	v_or_b32_e32 v23, v5, v23
	s_cbranch_scc1 .LBB3_748
	s_branch .LBB3_751
.LBB3_749:                              ;   in Loop: Header=BB3_698 Depth=1
	s_branch .LBB3_752
.LBB3_750:                              ;   in Loop: Header=BB3_698 Depth=1
	v_mov_b32_e32 v22, 0
	v_mov_b32_e32 v23, 0
.LBB3_751:                              ;   in Loop: Header=BB3_698 Depth=1
	s_cbranch_execnz .LBB3_753
.LBB3_752:                              ;   in Loop: Header=BB3_698 Depth=1
	global_load_dwordx2 v[22:23], v28, s[4:5]
.LBB3_753:                              ;   in Loop: Header=BB3_698 Depth=1
	v_readfirstlane_b32 s4, v50
	s_waitcnt vmcnt(0)
	v_mov_b32_e32 v4, 0
	v_mov_b32_e32 v5, 0
	v_cmp_eq_u32_e64 s[4:5], s4, v50
	s_and_saveexec_b64 s[20:21], s[4:5]
	s_cbranch_execz .LBB3_759
; %bb.754:                              ;   in Loop: Header=BB3_698 Depth=1
	global_load_dwordx2 v[26:27], v28, s[36:37] offset:24 glc
	s_waitcnt vmcnt(0)
	buffer_wbinvl1_vol
	global_load_dwordx2 v[4:5], v28, s[36:37] offset:40
	global_load_dwordx2 v[8:9], v28, s[36:37]
	s_waitcnt vmcnt(1)
	v_and_b32_e32 v4, v4, v26
	v_and_b32_e32 v5, v5, v27
	v_mul_lo_u32 v5, v5, 24
	v_mul_hi_u32 v24, v4, 24
	v_mul_lo_u32 v4, v4, 24
	v_add_u32_e32 v5, v24, v5
	s_waitcnt vmcnt(0)
	v_add_co_u32_e32 v4, vcc, v8, v4
	v_addc_co_u32_e32 v5, vcc, v9, v5, vcc
	global_load_dwordx2 v[24:25], v[4:5], off glc
	s_waitcnt vmcnt(0)
	global_atomic_cmpswap_x2 v[4:5], v28, v[24:27], s[36:37] offset:24 glc
	s_waitcnt vmcnt(0)
	buffer_wbinvl1_vol
	v_cmp_ne_u64_e32 vcc, v[4:5], v[26:27]
	s_and_saveexec_b64 s[22:23], vcc
	s_cbranch_execz .LBB3_758
; %bb.755:                              ;   in Loop: Header=BB3_698 Depth=1
	s_mov_b64 s[24:25], 0
.LBB3_756:                              ;   Parent Loop BB3_698 Depth=1
                                        ; =>  This Inner Loop Header: Depth=2
	s_sleep 1
	global_load_dwordx2 v[8:9], v28, s[36:37] offset:40
	global_load_dwordx2 v[24:25], v28, s[36:37]
	v_mov_b32_e32 v27, v5
	v_mov_b32_e32 v26, v4
	s_waitcnt vmcnt(1)
	v_and_b32_e32 v4, v8, v26
	s_waitcnt vmcnt(0)
	v_mad_u64_u32 v[4:5], s[26:27], v4, 24, v[24:25]
	v_and_b32_e32 v8, v9, v27
	v_mad_u64_u32 v[8:9], s[26:27], v8, 24, v[5:6]
	v_mov_b32_e32 v5, v8
	global_load_dwordx2 v[24:25], v[4:5], off glc
	s_waitcnt vmcnt(0)
	global_atomic_cmpswap_x2 v[4:5], v28, v[24:27], s[36:37] offset:24 glc
	s_waitcnt vmcnt(0)
	buffer_wbinvl1_vol
	v_cmp_eq_u64_e32 vcc, v[4:5], v[26:27]
	s_or_b64 s[24:25], vcc, s[24:25]
	s_andn2_b64 exec, exec, s[24:25]
	s_cbranch_execnz .LBB3_756
; %bb.757:                              ;   in Loop: Header=BB3_698 Depth=1
	s_or_b64 exec, exec, s[24:25]
.LBB3_758:                              ;   in Loop: Header=BB3_698 Depth=1
	s_or_b64 exec, exec, s[22:23]
.LBB3_759:                              ;   in Loop: Header=BB3_698 Depth=1
	s_or_b64 exec, exec, s[20:21]
	global_load_dwordx2 v[8:9], v28, s[36:37] offset:40
	global_load_dwordx4 v[24:27], v28, s[36:37]
	v_readfirstlane_b32 s20, v4
	v_readfirstlane_b32 s21, v5
	s_mov_b64 s[22:23], exec
	s_waitcnt vmcnt(1)
	v_readfirstlane_b32 s24, v8
	v_readfirstlane_b32 s25, v9
	s_and_b64 s[24:25], s[20:21], s[24:25]
	s_mul_i32 s15, s25, 24
	s_mul_hi_u32 s26, s24, 24
	s_mul_i32 s27, s24, 24
	s_add_i32 s15, s26, s15
	v_mov_b32_e32 v4, s15
	s_waitcnt vmcnt(0)
	v_add_co_u32_e32 v29, vcc, s27, v24
	v_addc_co_u32_e32 v30, vcc, v25, v4, vcc
	s_and_saveexec_b64 s[26:27], s[4:5]
	s_cbranch_execz .LBB3_761
; %bb.760:                              ;   in Loop: Header=BB3_698 Depth=1
	v_mov_b32_e32 v4, s22
	v_mov_b32_e32 v5, s23
	global_store_dwordx4 v[29:30], v[4:7], off offset:8
.LBB3_761:                              ;   in Loop: Header=BB3_698 Depth=1
	s_or_b64 exec, exec, s[26:27]
	s_lshl_b64 s[22:23], s[24:25], 12
	v_mov_b32_e32 v4, s23
	v_add_co_u32_e32 v26, vcc, s22, v26
	v_addc_co_u32_e32 v32, vcc, v27, v4, vcc
	v_cmp_gt_u64_e64 vcc, s[16:17], 56
	v_or_b32_e32 v5, v2, v31
	s_lshl_b32 s15, s18, 2
	v_cndmask_b32_e32 v2, v5, v2, vcc
	s_add_i32 s15, s15, 28
	v_or_b32_e32 v4, 0, v3
	s_and_b32 s15, s15, 0x1e0
	v_and_b32_e32 v2, 0xffffff1f, v2
	v_cndmask_b32_e32 v9, v4, v3, vcc
	v_or_b32_e32 v8, s15, v2
	v_readfirstlane_b32 s22, v26
	v_readfirstlane_b32 s23, v32
	s_nop 4
	global_store_dwordx4 v39, v[8:11], s[22:23]
	global_store_dwordx4 v39, v[12:15], s[22:23] offset:16
	global_store_dwordx4 v39, v[16:19], s[22:23] offset:32
	;; [unrolled: 1-line block ×3, first 2 shown]
	s_and_saveexec_b64 s[22:23], s[4:5]
	s_cbranch_execz .LBB3_769
; %bb.762:                              ;   in Loop: Header=BB3_698 Depth=1
	global_load_dwordx2 v[12:13], v28, s[36:37] offset:32 glc
	global_load_dwordx2 v[2:3], v28, s[36:37] offset:40
	v_mov_b32_e32 v10, s20
	v_mov_b32_e32 v11, s21
	s_waitcnt vmcnt(0)
	v_readfirstlane_b32 s24, v2
	v_readfirstlane_b32 s25, v3
	s_and_b64 s[24:25], s[24:25], s[20:21]
	s_mul_i32 s15, s25, 24
	s_mul_hi_u32 s25, s24, 24
	s_mul_i32 s24, s24, 24
	s_add_i32 s15, s25, s15
	v_mov_b32_e32 v2, s15
	v_add_co_u32_e32 v8, vcc, s24, v24
	v_addc_co_u32_e32 v9, vcc, v25, v2, vcc
	global_store_dwordx2 v[8:9], v[12:13], off
	s_waitcnt vmcnt(0)
	global_atomic_cmpswap_x2 v[4:5], v28, v[10:13], s[36:37] offset:32 glc
	s_waitcnt vmcnt(0)
	v_cmp_ne_u64_e32 vcc, v[4:5], v[12:13]
	s_and_saveexec_b64 s[24:25], vcc
	s_cbranch_execz .LBB3_765
; %bb.763:                              ;   in Loop: Header=BB3_698 Depth=1
	s_mov_b64 s[26:27], 0
.LBB3_764:                              ;   Parent Loop BB3_698 Depth=1
                                        ; =>  This Inner Loop Header: Depth=2
	s_sleep 1
	global_store_dwordx2 v[8:9], v[4:5], off
	v_mov_b32_e32 v2, s20
	v_mov_b32_e32 v3, s21
	s_waitcnt vmcnt(0)
	global_atomic_cmpswap_x2 v[2:3], v28, v[2:5], s[36:37] offset:32 glc
	s_waitcnt vmcnt(0)
	v_cmp_eq_u64_e32 vcc, v[2:3], v[4:5]
	v_mov_b32_e32 v5, v3
	s_or_b64 s[26:27], vcc, s[26:27]
	v_mov_b32_e32 v4, v2
	s_andn2_b64 exec, exec, s[26:27]
	s_cbranch_execnz .LBB3_764
.LBB3_765:                              ;   in Loop: Header=BB3_698 Depth=1
	s_or_b64 exec, exec, s[24:25]
	global_load_dwordx2 v[2:3], v28, s[36:37] offset:16
	s_mov_b64 s[26:27], exec
	v_mbcnt_lo_u32_b32 v4, s26, 0
	v_mbcnt_hi_u32_b32 v4, s27, v4
	v_cmp_eq_u32_e32 vcc, 0, v4
	s_and_saveexec_b64 s[24:25], vcc
	s_cbranch_execz .LBB3_767
; %bb.766:                              ;   in Loop: Header=BB3_698 Depth=1
	s_bcnt1_i32_b64 s15, s[26:27]
	v_mov_b32_e32 v27, s15
	s_waitcnt vmcnt(0)
	global_atomic_add_x2 v[2:3], v[27:28], off offset:8
.LBB3_767:                              ;   in Loop: Header=BB3_698 Depth=1
	s_or_b64 exec, exec, s[24:25]
	s_waitcnt vmcnt(0)
	global_load_dwordx2 v[4:5], v[2:3], off offset:16
	s_waitcnt vmcnt(0)
	v_cmp_eq_u64_e32 vcc, 0, v[4:5]
	s_cbranch_vccnz .LBB3_769
; %bb.768:                              ;   in Loop: Header=BB3_698 Depth=1
	global_load_dword v27, v[2:3], off offset:24
	s_waitcnt vmcnt(0)
	v_and_b32_e32 v2, 0xffffff, v27
	v_readfirstlane_b32 m0, v2
	global_store_dwordx2 v[4:5], v[27:28], off
	s_sendmsg sendmsg(MSG_INTERRUPT)
.LBB3_769:                              ;   in Loop: Header=BB3_698 Depth=1
	s_or_b64 exec, exec, s[22:23]
	v_add_co_u32_e32 v2, vcc, v26, v39
	v_addc_co_u32_e32 v3, vcc, 0, v32, vcc
	s_branch .LBB3_773
.LBB3_770:                              ;   in Loop: Header=BB3_773 Depth=2
	s_or_b64 exec, exec, s[22:23]
	v_readfirstlane_b32 s15, v4
	s_cmp_eq_u32 s15, 0
	s_cbranch_scc1 .LBB3_772
; %bb.771:                              ;   in Loop: Header=BB3_773 Depth=2
	s_sleep 1
	s_cbranch_execnz .LBB3_773
	s_branch .LBB3_775
.LBB3_772:                              ;   in Loop: Header=BB3_698 Depth=1
	s_branch .LBB3_775
.LBB3_773:                              ;   Parent Loop BB3_698 Depth=1
                                        ; =>  This Inner Loop Header: Depth=2
	v_mov_b32_e32 v4, 1
	s_and_saveexec_b64 s[22:23], s[4:5]
	s_cbranch_execz .LBB3_770
; %bb.774:                              ;   in Loop: Header=BB3_773 Depth=2
	global_load_dword v4, v[29:30], off offset:20 glc
	s_waitcnt vmcnt(0)
	buffer_wbinvl1_vol
	v_and_b32_e32 v4, 1, v4
	s_branch .LBB3_770
.LBB3_775:                              ;   in Loop: Header=BB3_698 Depth=1
	global_load_dwordx4 v[2:5], v[2:3], off
	s_and_saveexec_b64 s[22:23], s[4:5]
	s_cbranch_execz .LBB3_697
; %bb.776:                              ;   in Loop: Header=BB3_698 Depth=1
	global_load_dwordx2 v[4:5], v28, s[36:37] offset:40
	global_load_dwordx2 v[12:13], v28, s[36:37] offset:24 glc
	global_load_dwordx2 v[14:15], v28, s[36:37]
	v_mov_b32_e32 v9, s21
	s_waitcnt vmcnt(2)
	v_add_co_u32_e32 v10, vcc, 1, v4
	v_addc_co_u32_e32 v11, vcc, 0, v5, vcc
	v_add_co_u32_e32 v8, vcc, s20, v10
	v_addc_co_u32_e32 v9, vcc, v11, v9, vcc
	v_cmp_eq_u64_e32 vcc, 0, v[8:9]
	v_cndmask_b32_e32 v9, v9, v11, vcc
	v_cndmask_b32_e32 v8, v8, v10, vcc
	v_and_b32_e32 v5, v9, v5
	v_and_b32_e32 v4, v8, v4
	v_mul_lo_u32 v5, v5, 24
	v_mul_hi_u32 v11, v4, 24
	v_mul_lo_u32 v4, v4, 24
	s_waitcnt vmcnt(1)
	v_mov_b32_e32 v10, v12
	v_add_u32_e32 v5, v11, v5
	s_waitcnt vmcnt(0)
	v_add_co_u32_e32 v4, vcc, v14, v4
	v_addc_co_u32_e32 v5, vcc, v15, v5, vcc
	global_store_dwordx2 v[4:5], v[12:13], off
	v_mov_b32_e32 v11, v13
	s_waitcnt vmcnt(0)
	global_atomic_cmpswap_x2 v[10:11], v28, v[8:11], s[36:37] offset:24 glc
	s_waitcnt vmcnt(0)
	v_cmp_ne_u64_e32 vcc, v[10:11], v[12:13]
	s_and_b64 exec, exec, vcc
	s_cbranch_execz .LBB3_697
; %bb.777:                              ;   in Loop: Header=BB3_698 Depth=1
	s_mov_b64 s[4:5], 0
.LBB3_778:                              ;   Parent Loop BB3_698 Depth=1
                                        ; =>  This Inner Loop Header: Depth=2
	s_sleep 1
	global_store_dwordx2 v[4:5], v[10:11], off
	s_waitcnt vmcnt(0)
	global_atomic_cmpswap_x2 v[12:13], v28, v[8:11], s[36:37] offset:24 glc
	s_waitcnt vmcnt(0)
	v_cmp_eq_u64_e32 vcc, v[12:13], v[10:11]
	v_mov_b32_e32 v10, v12
	s_or_b64 s[4:5], vcc, s[4:5]
	v_mov_b32_e32 v11, v13
	s_andn2_b64 exec, exec, s[4:5]
	s_cbranch_execnz .LBB3_778
	s_branch .LBB3_697
.LBB3_779:
	s_branch .LBB3_807
.LBB3_780:
                                        ; implicit-def: $vgpr2_vgpr3
	s_cbranch_execz .LBB3_807
; %bb.781:
	v_readfirstlane_b32 s4, v50
	v_mov_b32_e32 v8, 0
	v_mov_b32_e32 v9, 0
	v_cmp_eq_u32_e64 s[4:5], s4, v50
	s_and_saveexec_b64 s[10:11], s[4:5]
	s_cbranch_execz .LBB3_787
; %bb.782:
	s_waitcnt vmcnt(0)
	v_mov_b32_e32 v2, 0
	global_load_dwordx2 v[5:6], v2, s[36:37] offset:24 glc
	s_waitcnt vmcnt(0)
	buffer_wbinvl1_vol
	global_load_dwordx2 v[3:4], v2, s[36:37] offset:40
	global_load_dwordx2 v[7:8], v2, s[36:37]
	s_waitcnt vmcnt(1)
	v_and_b32_e32 v3, v3, v5
	v_and_b32_e32 v4, v4, v6
	v_mul_lo_u32 v4, v4, 24
	v_mul_hi_u32 v9, v3, 24
	v_mul_lo_u32 v3, v3, 24
	v_add_u32_e32 v4, v9, v4
	s_waitcnt vmcnt(0)
	v_add_co_u32_e32 v3, vcc, v7, v3
	v_addc_co_u32_e32 v4, vcc, v8, v4, vcc
	global_load_dwordx2 v[3:4], v[3:4], off glc
	s_waitcnt vmcnt(0)
	global_atomic_cmpswap_x2 v[8:9], v2, v[3:6], s[36:37] offset:24 glc
	s_waitcnt vmcnt(0)
	buffer_wbinvl1_vol
	v_cmp_ne_u64_e32 vcc, v[8:9], v[5:6]
	s_and_saveexec_b64 s[16:17], vcc
	s_cbranch_execz .LBB3_786
; %bb.783:
	s_mov_b64 s[18:19], 0
.LBB3_784:                              ; =>This Inner Loop Header: Depth=1
	s_sleep 1
	global_load_dwordx2 v[3:4], v2, s[36:37] offset:40
	global_load_dwordx2 v[10:11], v2, s[36:37]
	v_mov_b32_e32 v5, v8
	v_mov_b32_e32 v6, v9
	s_waitcnt vmcnt(1)
	v_and_b32_e32 v3, v3, v5
	s_waitcnt vmcnt(0)
	v_mad_u64_u32 v[7:8], s[20:21], v3, 24, v[10:11]
	v_and_b32_e32 v4, v4, v6
	v_mov_b32_e32 v3, v8
	v_mad_u64_u32 v[3:4], s[20:21], v4, 24, v[3:4]
	v_mov_b32_e32 v8, v3
	global_load_dwordx2 v[3:4], v[7:8], off glc
	s_waitcnt vmcnt(0)
	global_atomic_cmpswap_x2 v[8:9], v2, v[3:6], s[36:37] offset:24 glc
	s_waitcnt vmcnt(0)
	buffer_wbinvl1_vol
	v_cmp_eq_u64_e32 vcc, v[8:9], v[5:6]
	s_or_b64 s[18:19], vcc, s[18:19]
	s_andn2_b64 exec, exec, s[18:19]
	s_cbranch_execnz .LBB3_784
; %bb.785:
	s_or_b64 exec, exec, s[18:19]
.LBB3_786:
	s_or_b64 exec, exec, s[16:17]
.LBB3_787:
	s_or_b64 exec, exec, s[10:11]
	s_waitcnt vmcnt(0)
	v_mov_b32_e32 v2, 0
	global_load_dwordx2 v[10:11], v2, s[36:37] offset:40
	global_load_dwordx4 v[4:7], v2, s[36:37]
	v_readfirstlane_b32 s10, v8
	v_readfirstlane_b32 s11, v9
	s_mov_b64 s[16:17], exec
	s_waitcnt vmcnt(1)
	v_readfirstlane_b32 s18, v10
	v_readfirstlane_b32 s19, v11
	s_and_b64 s[18:19], s[10:11], s[18:19]
	s_mul_i32 s15, s19, 24
	s_mul_hi_u32 s20, s18, 24
	s_mul_i32 s21, s18, 24
	s_add_i32 s15, s20, s15
	v_mov_b32_e32 v3, s15
	s_waitcnt vmcnt(0)
	v_add_co_u32_e32 v8, vcc, s21, v4
	v_addc_co_u32_e32 v9, vcc, v5, v3, vcc
	s_and_saveexec_b64 s[20:21], s[4:5]
	s_cbranch_execz .LBB3_789
; %bb.788:
	v_mov_b32_e32 v10, s16
	v_mov_b32_e32 v11, s17
	;; [unrolled: 1-line block ×4, first 2 shown]
	global_store_dwordx4 v[8:9], v[10:13], off offset:8
.LBB3_789:
	s_or_b64 exec, exec, s[20:21]
	s_lshl_b64 s[16:17], s[18:19], 12
	v_mov_b32_e32 v3, s17
	v_add_co_u32_e32 v10, vcc, s16, v6
	v_addc_co_u32_e32 v11, vcc, v7, v3, vcc
	s_movk_i32 s15, 0xff1f
	v_and_or_b32 v0, v0, s15, 32
	s_mov_b32 s16, 0
	v_mov_b32_e32 v3, v2
	v_readfirstlane_b32 s20, v10
	v_readfirstlane_b32 s21, v11
	v_add_co_u32_e32 v6, vcc, v10, v39
	s_mov_b32 s17, s16
	s_mov_b32 s18, s16
	;; [unrolled: 1-line block ×3, first 2 shown]
	s_nop 0
	global_store_dwordx4 v39, v[0:3], s[20:21]
	v_addc_co_u32_e32 v7, vcc, 0, v11, vcc
	v_mov_b32_e32 v0, s16
	v_mov_b32_e32 v1, s17
	;; [unrolled: 1-line block ×4, first 2 shown]
	global_store_dwordx4 v39, v[0:3], s[20:21] offset:16
	global_store_dwordx4 v39, v[0:3], s[20:21] offset:32
	;; [unrolled: 1-line block ×3, first 2 shown]
	s_and_saveexec_b64 s[16:17], s[4:5]
	s_cbranch_execz .LBB3_797
; %bb.790:
	v_mov_b32_e32 v10, 0
	global_load_dwordx2 v[13:14], v10, s[36:37] offset:32 glc
	global_load_dwordx2 v[0:1], v10, s[36:37] offset:40
	v_mov_b32_e32 v11, s10
	v_mov_b32_e32 v12, s11
	s_waitcnt vmcnt(0)
	v_readfirstlane_b32 s18, v0
	v_readfirstlane_b32 s19, v1
	s_and_b64 s[18:19], s[18:19], s[10:11]
	s_mul_i32 s15, s19, 24
	s_mul_hi_u32 s19, s18, 24
	s_mul_i32 s18, s18, 24
	s_add_i32 s15, s19, s15
	v_mov_b32_e32 v0, s15
	v_add_co_u32_e32 v4, vcc, s18, v4
	v_addc_co_u32_e32 v5, vcc, v5, v0, vcc
	global_store_dwordx2 v[4:5], v[13:14], off
	s_waitcnt vmcnt(0)
	global_atomic_cmpswap_x2 v[2:3], v10, v[11:14], s[36:37] offset:32 glc
	s_waitcnt vmcnt(0)
	v_cmp_ne_u64_e32 vcc, v[2:3], v[13:14]
	s_and_saveexec_b64 s[18:19], vcc
	s_cbranch_execz .LBB3_793
; %bb.791:
	s_mov_b64 s[20:21], 0
.LBB3_792:                              ; =>This Inner Loop Header: Depth=1
	s_sleep 1
	global_store_dwordx2 v[4:5], v[2:3], off
	v_mov_b32_e32 v0, s10
	v_mov_b32_e32 v1, s11
	s_waitcnt vmcnt(0)
	global_atomic_cmpswap_x2 v[0:1], v10, v[0:3], s[36:37] offset:32 glc
	s_waitcnt vmcnt(0)
	v_cmp_eq_u64_e32 vcc, v[0:1], v[2:3]
	v_mov_b32_e32 v3, v1
	s_or_b64 s[20:21], vcc, s[20:21]
	v_mov_b32_e32 v2, v0
	s_andn2_b64 exec, exec, s[20:21]
	s_cbranch_execnz .LBB3_792
.LBB3_793:
	s_or_b64 exec, exec, s[18:19]
	v_mov_b32_e32 v3, 0
	global_load_dwordx2 v[0:1], v3, s[36:37] offset:16
	s_mov_b64 s[18:19], exec
	v_mbcnt_lo_u32_b32 v2, s18, 0
	v_mbcnt_hi_u32_b32 v2, s19, v2
	v_cmp_eq_u32_e32 vcc, 0, v2
	s_and_saveexec_b64 s[20:21], vcc
	s_cbranch_execz .LBB3_795
; %bb.794:
	s_bcnt1_i32_b64 s15, s[18:19]
	v_mov_b32_e32 v2, s15
	s_waitcnt vmcnt(0)
	global_atomic_add_x2 v[0:1], v[2:3], off offset:8
.LBB3_795:
	s_or_b64 exec, exec, s[20:21]
	s_waitcnt vmcnt(0)
	global_load_dwordx2 v[2:3], v[0:1], off offset:16
	s_waitcnt vmcnt(0)
	v_cmp_eq_u64_e32 vcc, 0, v[2:3]
	s_cbranch_vccnz .LBB3_797
; %bb.796:
	global_load_dword v0, v[0:1], off offset:24
	v_mov_b32_e32 v1, 0
	s_waitcnt vmcnt(0)
	global_store_dwordx2 v[2:3], v[0:1], off
	v_and_b32_e32 v0, 0xffffff, v0
	v_readfirstlane_b32 m0, v0
	s_sendmsg sendmsg(MSG_INTERRUPT)
.LBB3_797:
	s_or_b64 exec, exec, s[16:17]
	s_branch .LBB3_801
.LBB3_798:                              ;   in Loop: Header=BB3_801 Depth=1
	s_or_b64 exec, exec, s[16:17]
	v_readfirstlane_b32 s15, v0
	s_cmp_eq_u32 s15, 0
	s_cbranch_scc1 .LBB3_800
; %bb.799:                              ;   in Loop: Header=BB3_801 Depth=1
	s_sleep 1
	s_cbranch_execnz .LBB3_801
	s_branch .LBB3_803
.LBB3_800:
	s_branch .LBB3_803
.LBB3_801:                              ; =>This Inner Loop Header: Depth=1
	v_mov_b32_e32 v0, 1
	s_and_saveexec_b64 s[16:17], s[4:5]
	s_cbranch_execz .LBB3_798
; %bb.802:                              ;   in Loop: Header=BB3_801 Depth=1
	global_load_dword v0, v[8:9], off offset:20 glc
	s_waitcnt vmcnt(0)
	buffer_wbinvl1_vol
	v_and_b32_e32 v0, 1, v0
	s_branch .LBB3_798
.LBB3_803:
	global_load_dwordx2 v[2:3], v[6:7], off
	s_and_saveexec_b64 s[16:17], s[4:5]
	s_cbranch_execz .LBB3_806
; %bb.804:
	v_mov_b32_e32 v8, 0
	global_load_dwordx2 v[0:1], v8, s[36:37] offset:40
	global_load_dwordx2 v[9:10], v8, s[36:37] offset:24 glc
	global_load_dwordx2 v[11:12], v8, s[36:37]
	v_mov_b32_e32 v5, s11
	s_mov_b64 s[4:5], 0
	s_waitcnt vmcnt(2)
	v_add_co_u32_e32 v6, vcc, 1, v0
	v_addc_co_u32_e32 v7, vcc, 0, v1, vcc
	v_add_co_u32_e32 v4, vcc, s10, v6
	v_addc_co_u32_e32 v5, vcc, v7, v5, vcc
	v_cmp_eq_u64_e32 vcc, 0, v[4:5]
	v_cndmask_b32_e32 v5, v5, v7, vcc
	v_cndmask_b32_e32 v4, v4, v6, vcc
	v_and_b32_e32 v1, v5, v1
	v_and_b32_e32 v0, v4, v0
	v_mul_lo_u32 v1, v1, 24
	v_mul_hi_u32 v7, v0, 24
	v_mul_lo_u32 v0, v0, 24
	s_waitcnt vmcnt(1)
	v_mov_b32_e32 v6, v9
	v_add_u32_e32 v1, v7, v1
	s_waitcnt vmcnt(0)
	v_add_co_u32_e32 v0, vcc, v11, v0
	v_addc_co_u32_e32 v1, vcc, v12, v1, vcc
	global_store_dwordx2 v[0:1], v[9:10], off
	v_mov_b32_e32 v7, v10
	s_waitcnt vmcnt(0)
	global_atomic_cmpswap_x2 v[6:7], v8, v[4:7], s[36:37] offset:24 glc
	s_waitcnt vmcnt(0)
	v_cmp_ne_u64_e32 vcc, v[6:7], v[9:10]
	s_and_b64 exec, exec, vcc
	s_cbranch_execz .LBB3_806
.LBB3_805:                              ; =>This Inner Loop Header: Depth=1
	s_sleep 1
	global_store_dwordx2 v[0:1], v[6:7], off
	s_waitcnt vmcnt(0)
	global_atomic_cmpswap_x2 v[9:10], v8, v[4:7], s[36:37] offset:24 glc
	s_waitcnt vmcnt(0)
	v_cmp_eq_u64_e32 vcc, v[9:10], v[6:7]
	v_mov_b32_e32 v6, v9
	s_or_b64 s[4:5], vcc, s[4:5]
	v_mov_b32_e32 v7, v10
	s_andn2_b64 exec, exec, s[4:5]
	s_cbranch_execnz .LBB3_805
.LBB3_806:
	s_or_b64 exec, exec, s[16:17]
.LBB3_807:
	v_readfirstlane_b32 s4, v50
	s_waitcnt vmcnt(0)
	v_mov_b32_e32 v0, 0
	v_mov_b32_e32 v1, 0
	v_cmp_eq_u32_e64 s[4:5], s4, v50
	s_and_saveexec_b64 s[10:11], s[4:5]
	s_cbranch_execz .LBB3_813
; %bb.808:
	v_mov_b32_e32 v4, 0
	global_load_dwordx2 v[7:8], v4, s[36:37] offset:24 glc
	s_waitcnt vmcnt(0)
	buffer_wbinvl1_vol
	global_load_dwordx2 v[0:1], v4, s[36:37] offset:40
	global_load_dwordx2 v[5:6], v4, s[36:37]
	s_waitcnt vmcnt(1)
	v_and_b32_e32 v0, v0, v7
	v_and_b32_e32 v1, v1, v8
	v_mul_lo_u32 v1, v1, 24
	v_mul_hi_u32 v9, v0, 24
	v_mul_lo_u32 v0, v0, 24
	v_add_u32_e32 v1, v9, v1
	s_waitcnt vmcnt(0)
	v_add_co_u32_e32 v0, vcc, v5, v0
	v_addc_co_u32_e32 v1, vcc, v6, v1, vcc
	global_load_dwordx2 v[5:6], v[0:1], off glc
	s_waitcnt vmcnt(0)
	global_atomic_cmpswap_x2 v[0:1], v4, v[5:8], s[36:37] offset:24 glc
	s_waitcnt vmcnt(0)
	buffer_wbinvl1_vol
	v_cmp_ne_u64_e32 vcc, v[0:1], v[7:8]
	s_and_saveexec_b64 s[16:17], vcc
	s_cbranch_execz .LBB3_812
; %bb.809:
	s_mov_b64 s[18:19], 0
.LBB3_810:                              ; =>This Inner Loop Header: Depth=1
	s_sleep 1
	global_load_dwordx2 v[5:6], v4, s[36:37] offset:40
	global_load_dwordx2 v[9:10], v4, s[36:37]
	v_mov_b32_e32 v8, v1
	v_mov_b32_e32 v7, v0
	s_waitcnt vmcnt(1)
	v_and_b32_e32 v0, v5, v7
	s_waitcnt vmcnt(0)
	v_mad_u64_u32 v[0:1], s[20:21], v0, 24, v[9:10]
	v_and_b32_e32 v5, v6, v8
	v_mad_u64_u32 v[5:6], s[20:21], v5, 24, v[1:2]
	v_mov_b32_e32 v1, v5
	global_load_dwordx2 v[5:6], v[0:1], off glc
	s_waitcnt vmcnt(0)
	global_atomic_cmpswap_x2 v[0:1], v4, v[5:8], s[36:37] offset:24 glc
	s_waitcnt vmcnt(0)
	buffer_wbinvl1_vol
	v_cmp_eq_u64_e32 vcc, v[0:1], v[7:8]
	s_or_b64 s[18:19], vcc, s[18:19]
	s_andn2_b64 exec, exec, s[18:19]
	s_cbranch_execnz .LBB3_810
; %bb.811:
	s_or_b64 exec, exec, s[18:19]
.LBB3_812:
	s_or_b64 exec, exec, s[16:17]
.LBB3_813:
	s_or_b64 exec, exec, s[10:11]
	v_mov_b32_e32 v5, 0
	global_load_dwordx2 v[10:11], v5, s[36:37] offset:40
	global_load_dwordx4 v[6:9], v5, s[36:37]
	v_readfirstlane_b32 s10, v0
	v_readfirstlane_b32 s11, v1
	s_mov_b64 s[16:17], exec
	s_waitcnt vmcnt(1)
	v_readfirstlane_b32 s18, v10
	v_readfirstlane_b32 s19, v11
	s_and_b64 s[18:19], s[10:11], s[18:19]
	s_mul_i32 s15, s19, 24
	s_mul_hi_u32 s20, s18, 24
	s_mul_i32 s21, s18, 24
	s_add_i32 s15, s20, s15
	v_mov_b32_e32 v0, s15
	s_waitcnt vmcnt(0)
	v_add_co_u32_e32 v10, vcc, s21, v6
	v_addc_co_u32_e32 v11, vcc, v7, v0, vcc
	s_and_saveexec_b64 s[20:21], s[4:5]
	s_cbranch_execz .LBB3_815
; %bb.814:
	v_mov_b32_e32 v12, s16
	v_mov_b32_e32 v13, s17
	;; [unrolled: 1-line block ×4, first 2 shown]
	global_store_dwordx4 v[10:11], v[12:15], off offset:8
.LBB3_815:
	s_or_b64 exec, exec, s[20:21]
	s_lshl_b64 s[16:17], s[18:19], 12
	v_mov_b32_e32 v0, s17
	v_add_co_u32_e32 v1, vcc, s16, v8
	v_addc_co_u32_e32 v0, vcc, v9, v0, vcc
	s_movk_i32 s15, 0xff1d
	v_and_or_b32 v2, v2, s15, 34
	s_mov_b32 s16, 0
	v_mov_b32_e32 v4, 58
	v_readfirstlane_b32 s20, v1
	v_readfirstlane_b32 s21, v0
	s_mov_b32 s17, s16
	s_mov_b32 s18, s16
	;; [unrolled: 1-line block ×3, first 2 shown]
	s_nop 1
	global_store_dwordx4 v39, v[2:5], s[20:21]
	v_mov_b32_e32 v0, s16
	v_mov_b32_e32 v1, s17
	;; [unrolled: 1-line block ×4, first 2 shown]
	global_store_dwordx4 v39, v[0:3], s[20:21] offset:16
	global_store_dwordx4 v39, v[0:3], s[20:21] offset:32
	;; [unrolled: 1-line block ×3, first 2 shown]
	s_and_saveexec_b64 s[16:17], s[4:5]
	s_cbranch_execz .LBB3_823
; %bb.816:
	v_mov_b32_e32 v8, 0
	global_load_dwordx2 v[14:15], v8, s[36:37] offset:32 glc
	global_load_dwordx2 v[0:1], v8, s[36:37] offset:40
	v_mov_b32_e32 v12, s10
	v_mov_b32_e32 v13, s11
	s_waitcnt vmcnt(0)
	v_readfirstlane_b32 s18, v0
	v_readfirstlane_b32 s19, v1
	s_and_b64 s[18:19], s[18:19], s[10:11]
	s_mul_i32 s15, s19, 24
	s_mul_hi_u32 s19, s18, 24
	s_mul_i32 s18, s18, 24
	s_add_i32 s15, s19, s15
	v_mov_b32_e32 v0, s15
	v_add_co_u32_e32 v4, vcc, s18, v6
	v_addc_co_u32_e32 v5, vcc, v7, v0, vcc
	global_store_dwordx2 v[4:5], v[14:15], off
	s_waitcnt vmcnt(0)
	global_atomic_cmpswap_x2 v[2:3], v8, v[12:15], s[36:37] offset:32 glc
	s_waitcnt vmcnt(0)
	v_cmp_ne_u64_e32 vcc, v[2:3], v[14:15]
	s_and_saveexec_b64 s[18:19], vcc
	s_cbranch_execz .LBB3_819
; %bb.817:
	s_mov_b64 s[20:21], 0
.LBB3_818:                              ; =>This Inner Loop Header: Depth=1
	s_sleep 1
	global_store_dwordx2 v[4:5], v[2:3], off
	v_mov_b32_e32 v0, s10
	v_mov_b32_e32 v1, s11
	s_waitcnt vmcnt(0)
	global_atomic_cmpswap_x2 v[0:1], v8, v[0:3], s[36:37] offset:32 glc
	s_waitcnt vmcnt(0)
	v_cmp_eq_u64_e32 vcc, v[0:1], v[2:3]
	v_mov_b32_e32 v3, v1
	s_or_b64 s[20:21], vcc, s[20:21]
	v_mov_b32_e32 v2, v0
	s_andn2_b64 exec, exec, s[20:21]
	s_cbranch_execnz .LBB3_818
.LBB3_819:
	s_or_b64 exec, exec, s[18:19]
	v_mov_b32_e32 v3, 0
	global_load_dwordx2 v[0:1], v3, s[36:37] offset:16
	s_mov_b64 s[18:19], exec
	v_mbcnt_lo_u32_b32 v2, s18, 0
	v_mbcnt_hi_u32_b32 v2, s19, v2
	v_cmp_eq_u32_e32 vcc, 0, v2
	s_and_saveexec_b64 s[20:21], vcc
	s_cbranch_execz .LBB3_821
; %bb.820:
	s_bcnt1_i32_b64 s15, s[18:19]
	v_mov_b32_e32 v2, s15
	s_waitcnt vmcnt(0)
	global_atomic_add_x2 v[0:1], v[2:3], off offset:8
.LBB3_821:
	s_or_b64 exec, exec, s[20:21]
	s_waitcnt vmcnt(0)
	global_load_dwordx2 v[2:3], v[0:1], off offset:16
	s_waitcnt vmcnt(0)
	v_cmp_eq_u64_e32 vcc, 0, v[2:3]
	s_cbranch_vccnz .LBB3_823
; %bb.822:
	global_load_dword v0, v[0:1], off offset:24
	v_mov_b32_e32 v1, 0
	s_waitcnt vmcnt(0)
	global_store_dwordx2 v[2:3], v[0:1], off
	v_and_b32_e32 v0, 0xffffff, v0
	v_readfirstlane_b32 m0, v0
	s_sendmsg sendmsg(MSG_INTERRUPT)
.LBB3_823:
	s_or_b64 exec, exec, s[16:17]
	s_branch .LBB3_827
.LBB3_824:                              ;   in Loop: Header=BB3_827 Depth=1
	s_or_b64 exec, exec, s[16:17]
	v_readfirstlane_b32 s15, v0
	s_cmp_eq_u32 s15, 0
	s_cbranch_scc1 .LBB3_826
; %bb.825:                              ;   in Loop: Header=BB3_827 Depth=1
	s_sleep 1
	s_cbranch_execnz .LBB3_827
	s_branch .LBB3_829
.LBB3_826:
	s_branch .LBB3_829
.LBB3_827:                              ; =>This Inner Loop Header: Depth=1
	v_mov_b32_e32 v0, 1
	s_and_saveexec_b64 s[16:17], s[4:5]
	s_cbranch_execz .LBB3_824
; %bb.828:                              ;   in Loop: Header=BB3_827 Depth=1
	global_load_dword v0, v[10:11], off offset:20 glc
	s_waitcnt vmcnt(0)
	buffer_wbinvl1_vol
	v_and_b32_e32 v0, 1, v0
	s_branch .LBB3_824
.LBB3_829:
	s_and_saveexec_b64 s[16:17], s[4:5]
	s_cbranch_execz .LBB3_832
; %bb.830:
	v_mov_b32_e32 v6, 0
	global_load_dwordx2 v[2:3], v6, s[36:37] offset:40
	global_load_dwordx2 v[7:8], v6, s[36:37] offset:24 glc
	global_load_dwordx2 v[4:5], v6, s[36:37]
	v_mov_b32_e32 v1, s11
	s_mov_b64 s[4:5], 0
	s_waitcnt vmcnt(2)
	v_add_co_u32_e32 v9, vcc, 1, v2
	v_addc_co_u32_e32 v10, vcc, 0, v3, vcc
	v_add_co_u32_e32 v0, vcc, s10, v9
	v_addc_co_u32_e32 v1, vcc, v10, v1, vcc
	v_cmp_eq_u64_e32 vcc, 0, v[0:1]
	v_cndmask_b32_e32 v1, v1, v10, vcc
	v_cndmask_b32_e32 v0, v0, v9, vcc
	v_and_b32_e32 v3, v1, v3
	v_and_b32_e32 v2, v0, v2
	v_mul_lo_u32 v3, v3, 24
	v_mul_hi_u32 v9, v2, 24
	v_mul_lo_u32 v10, v2, 24
	s_waitcnt vmcnt(1)
	v_mov_b32_e32 v2, v7
	v_add_u32_e32 v3, v9, v3
	s_waitcnt vmcnt(0)
	v_add_co_u32_e32 v4, vcc, v4, v10
	v_addc_co_u32_e32 v5, vcc, v5, v3, vcc
	global_store_dwordx2 v[4:5], v[7:8], off
	v_mov_b32_e32 v3, v8
	s_waitcnt vmcnt(0)
	global_atomic_cmpswap_x2 v[2:3], v6, v[0:3], s[36:37] offset:24 glc
	s_waitcnt vmcnt(0)
	v_cmp_ne_u64_e32 vcc, v[2:3], v[7:8]
	s_and_b64 exec, exec, vcc
	s_cbranch_execz .LBB3_832
.LBB3_831:                              ; =>This Inner Loop Header: Depth=1
	s_sleep 1
	global_store_dwordx2 v[4:5], v[2:3], off
	s_waitcnt vmcnt(0)
	global_atomic_cmpswap_x2 v[7:8], v6, v[0:3], s[36:37] offset:24 glc
	s_waitcnt vmcnt(0)
	v_cmp_eq_u64_e32 vcc, v[7:8], v[2:3]
	v_mov_b32_e32 v2, v7
	s_or_b64 s[4:5], vcc, s[4:5]
	v_mov_b32_e32 v3, v8
	s_andn2_b64 exec, exec, s[4:5]
	s_cbranch_execnz .LBB3_831
.LBB3_832:
	s_or_b64 exec, exec, s[16:17]
	v_readfirstlane_b32 s4, v50
	v_mov_b32_e32 v5, 0
	v_mov_b32_e32 v6, 0
	v_cmp_eq_u32_e64 s[4:5], s4, v50
	s_and_saveexec_b64 s[10:11], s[4:5]
	s_cbranch_execz .LBB3_838
; %bb.833:
	v_mov_b32_e32 v0, 0
	global_load_dwordx2 v[3:4], v0, s[36:37] offset:24 glc
	s_waitcnt vmcnt(0)
	buffer_wbinvl1_vol
	global_load_dwordx2 v[1:2], v0, s[36:37] offset:40
	global_load_dwordx2 v[5:6], v0, s[36:37]
	s_waitcnt vmcnt(1)
	v_and_b32_e32 v1, v1, v3
	v_and_b32_e32 v2, v2, v4
	v_mul_lo_u32 v2, v2, 24
	v_mul_hi_u32 v7, v1, 24
	v_mul_lo_u32 v1, v1, 24
	v_add_u32_e32 v2, v7, v2
	s_waitcnt vmcnt(0)
	v_add_co_u32_e32 v1, vcc, v5, v1
	v_addc_co_u32_e32 v2, vcc, v6, v2, vcc
	global_load_dwordx2 v[1:2], v[1:2], off glc
	s_waitcnt vmcnt(0)
	global_atomic_cmpswap_x2 v[5:6], v0, v[1:4], s[36:37] offset:24 glc
	s_waitcnt vmcnt(0)
	buffer_wbinvl1_vol
	v_cmp_ne_u64_e32 vcc, v[5:6], v[3:4]
	s_and_saveexec_b64 s[16:17], vcc
	s_cbranch_execz .LBB3_837
; %bb.834:
	s_mov_b64 s[18:19], 0
.LBB3_835:                              ; =>This Inner Loop Header: Depth=1
	s_sleep 1
	global_load_dwordx2 v[1:2], v0, s[36:37] offset:40
	global_load_dwordx2 v[7:8], v0, s[36:37]
	v_mov_b32_e32 v3, v5
	v_mov_b32_e32 v4, v6
	s_waitcnt vmcnt(1)
	v_and_b32_e32 v1, v1, v3
	s_waitcnt vmcnt(0)
	v_mad_u64_u32 v[5:6], s[20:21], v1, 24, v[7:8]
	v_and_b32_e32 v2, v2, v4
	v_mov_b32_e32 v1, v6
	v_mad_u64_u32 v[1:2], s[20:21], v2, 24, v[1:2]
	v_mov_b32_e32 v6, v1
	global_load_dwordx2 v[1:2], v[5:6], off glc
	s_waitcnt vmcnt(0)
	global_atomic_cmpswap_x2 v[5:6], v0, v[1:4], s[36:37] offset:24 glc
	s_waitcnt vmcnt(0)
	buffer_wbinvl1_vol
	v_cmp_eq_u64_e32 vcc, v[5:6], v[3:4]
	s_or_b64 s[18:19], vcc, s[18:19]
	s_andn2_b64 exec, exec, s[18:19]
	s_cbranch_execnz .LBB3_835
; %bb.836:
	s_or_b64 exec, exec, s[18:19]
.LBB3_837:
	s_or_b64 exec, exec, s[16:17]
.LBB3_838:
	s_or_b64 exec, exec, s[10:11]
	v_mov_b32_e32 v4, 0
	global_load_dwordx2 v[7:8], v4, s[36:37] offset:40
	global_load_dwordx4 v[0:3], v4, s[36:37]
	v_readfirstlane_b32 s10, v5
	v_readfirstlane_b32 s11, v6
	s_mov_b64 s[16:17], exec
	s_waitcnt vmcnt(1)
	v_readfirstlane_b32 s18, v7
	v_readfirstlane_b32 s19, v8
	s_and_b64 s[18:19], s[10:11], s[18:19]
	s_mul_i32 s15, s19, 24
	s_mul_hi_u32 s20, s18, 24
	s_mul_i32 s21, s18, 24
	s_add_i32 s15, s20, s15
	v_mov_b32_e32 v5, s15
	s_waitcnt vmcnt(0)
	v_add_co_u32_e32 v7, vcc, s21, v0
	v_addc_co_u32_e32 v8, vcc, v1, v5, vcc
	s_and_saveexec_b64 s[20:21], s[4:5]
	s_cbranch_execz .LBB3_840
; %bb.839:
	v_mov_b32_e32 v9, s16
	v_mov_b32_e32 v10, s17
	;; [unrolled: 1-line block ×4, first 2 shown]
	global_store_dwordx4 v[7:8], v[9:12], off offset:8
.LBB3_840:
	s_or_b64 exec, exec, s[20:21]
	s_lshl_b64 s[16:17], s[18:19], 12
	v_mov_b32_e32 v5, s17
	v_add_co_u32_e32 v2, vcc, s16, v2
	v_addc_co_u32_e32 v11, vcc, v3, v5, vcc
	s_mov_b32 s16, 0
	v_mov_b32_e32 v3, 33
	v_mov_b32_e32 v5, v4
	;; [unrolled: 1-line block ×3, first 2 shown]
	v_readfirstlane_b32 s20, v2
	v_readfirstlane_b32 s21, v11
	v_add_co_u32_e32 v9, vcc, v2, v39
	s_mov_b32 s17, s16
	s_mov_b32 s18, s16
	;; [unrolled: 1-line block ×3, first 2 shown]
	s_nop 0
	global_store_dwordx4 v39, v[3:6], s[20:21]
	v_mov_b32_e32 v2, s16
	v_addc_co_u32_e32 v10, vcc, 0, v11, vcc
	v_mov_b32_e32 v3, s17
	v_mov_b32_e32 v4, s18
	;; [unrolled: 1-line block ×3, first 2 shown]
	global_store_dwordx4 v39, v[2:5], s[20:21] offset:16
	global_store_dwordx4 v39, v[2:5], s[20:21] offset:32
	;; [unrolled: 1-line block ×3, first 2 shown]
	s_and_saveexec_b64 s[16:17], s[4:5]
	s_cbranch_execz .LBB3_848
; %bb.841:
	v_mov_b32_e32 v6, 0
	global_load_dwordx2 v[13:14], v6, s[36:37] offset:32 glc
	global_load_dwordx2 v[2:3], v6, s[36:37] offset:40
	v_mov_b32_e32 v11, s10
	v_mov_b32_e32 v12, s11
	s_waitcnt vmcnt(0)
	v_readfirstlane_b32 s18, v2
	v_readfirstlane_b32 s19, v3
	s_and_b64 s[18:19], s[18:19], s[10:11]
	s_mul_i32 s15, s19, 24
	s_mul_hi_u32 s19, s18, 24
	s_mul_i32 s18, s18, 24
	s_add_i32 s15, s19, s15
	v_mov_b32_e32 v2, s15
	v_add_co_u32_e32 v4, vcc, s18, v0
	v_addc_co_u32_e32 v5, vcc, v1, v2, vcc
	global_store_dwordx2 v[4:5], v[13:14], off
	s_waitcnt vmcnt(0)
	global_atomic_cmpswap_x2 v[2:3], v6, v[11:14], s[36:37] offset:32 glc
	s_waitcnt vmcnt(0)
	v_cmp_ne_u64_e32 vcc, v[2:3], v[13:14]
	s_and_saveexec_b64 s[18:19], vcc
	s_cbranch_execz .LBB3_844
; %bb.842:
	s_mov_b64 s[20:21], 0
.LBB3_843:                              ; =>This Inner Loop Header: Depth=1
	s_sleep 1
	global_store_dwordx2 v[4:5], v[2:3], off
	v_mov_b32_e32 v0, s10
	v_mov_b32_e32 v1, s11
	s_waitcnt vmcnt(0)
	global_atomic_cmpswap_x2 v[0:1], v6, v[0:3], s[36:37] offset:32 glc
	s_waitcnt vmcnt(0)
	v_cmp_eq_u64_e32 vcc, v[0:1], v[2:3]
	v_mov_b32_e32 v3, v1
	s_or_b64 s[20:21], vcc, s[20:21]
	v_mov_b32_e32 v2, v0
	s_andn2_b64 exec, exec, s[20:21]
	s_cbranch_execnz .LBB3_843
.LBB3_844:
	s_or_b64 exec, exec, s[18:19]
	v_mov_b32_e32 v3, 0
	global_load_dwordx2 v[0:1], v3, s[36:37] offset:16
	s_mov_b64 s[18:19], exec
	v_mbcnt_lo_u32_b32 v2, s18, 0
	v_mbcnt_hi_u32_b32 v2, s19, v2
	v_cmp_eq_u32_e32 vcc, 0, v2
	s_and_saveexec_b64 s[20:21], vcc
	s_cbranch_execz .LBB3_846
; %bb.845:
	s_bcnt1_i32_b64 s15, s[18:19]
	v_mov_b32_e32 v2, s15
	s_waitcnt vmcnt(0)
	global_atomic_add_x2 v[0:1], v[2:3], off offset:8
.LBB3_846:
	s_or_b64 exec, exec, s[20:21]
	s_waitcnt vmcnt(0)
	global_load_dwordx2 v[2:3], v[0:1], off offset:16
	s_waitcnt vmcnt(0)
	v_cmp_eq_u64_e32 vcc, 0, v[2:3]
	s_cbranch_vccnz .LBB3_848
; %bb.847:
	global_load_dword v0, v[0:1], off offset:24
	v_mov_b32_e32 v1, 0
	s_waitcnt vmcnt(0)
	global_store_dwordx2 v[2:3], v[0:1], off
	v_and_b32_e32 v0, 0xffffff, v0
	v_readfirstlane_b32 m0, v0
	s_sendmsg sendmsg(MSG_INTERRUPT)
.LBB3_848:
	s_or_b64 exec, exec, s[16:17]
	s_branch .LBB3_852
.LBB3_849:                              ;   in Loop: Header=BB3_852 Depth=1
	s_or_b64 exec, exec, s[16:17]
	v_readfirstlane_b32 s15, v0
	s_cmp_eq_u32 s15, 0
	s_cbranch_scc1 .LBB3_851
; %bb.850:                              ;   in Loop: Header=BB3_852 Depth=1
	s_sleep 1
	s_cbranch_execnz .LBB3_852
	s_branch .LBB3_854
.LBB3_851:
	s_branch .LBB3_854
.LBB3_852:                              ; =>This Inner Loop Header: Depth=1
	v_mov_b32_e32 v0, 1
	s_and_saveexec_b64 s[16:17], s[4:5]
	s_cbranch_execz .LBB3_849
; %bb.853:                              ;   in Loop: Header=BB3_852 Depth=1
	global_load_dword v0, v[7:8], off offset:20 glc
	s_waitcnt vmcnt(0)
	buffer_wbinvl1_vol
	v_and_b32_e32 v0, 1, v0
	s_branch .LBB3_849
.LBB3_854:
	global_load_dwordx2 v[0:1], v[9:10], off
	s_and_saveexec_b64 s[16:17], s[4:5]
	s_cbranch_execz .LBB3_857
; %bb.855:
	v_mov_b32_e32 v8, 0
	global_load_dwordx2 v[4:5], v8, s[36:37] offset:40
	global_load_dwordx2 v[9:10], v8, s[36:37] offset:24 glc
	global_load_dwordx2 v[6:7], v8, s[36:37]
	v_mov_b32_e32 v3, s11
	s_mov_b64 s[4:5], 0
	s_waitcnt vmcnt(2)
	v_add_co_u32_e32 v11, vcc, 1, v4
	v_addc_co_u32_e32 v12, vcc, 0, v5, vcc
	v_add_co_u32_e32 v2, vcc, s10, v11
	v_addc_co_u32_e32 v3, vcc, v12, v3, vcc
	v_cmp_eq_u64_e32 vcc, 0, v[2:3]
	v_cndmask_b32_e32 v3, v3, v12, vcc
	v_cndmask_b32_e32 v2, v2, v11, vcc
	v_and_b32_e32 v5, v3, v5
	v_and_b32_e32 v4, v2, v4
	v_mul_lo_u32 v5, v5, 24
	v_mul_hi_u32 v11, v4, 24
	v_mul_lo_u32 v12, v4, 24
	s_waitcnt vmcnt(1)
	v_mov_b32_e32 v4, v9
	v_add_u32_e32 v5, v11, v5
	s_waitcnt vmcnt(0)
	v_add_co_u32_e32 v6, vcc, v6, v12
	v_addc_co_u32_e32 v7, vcc, v7, v5, vcc
	global_store_dwordx2 v[6:7], v[9:10], off
	v_mov_b32_e32 v5, v10
	s_waitcnt vmcnt(0)
	global_atomic_cmpswap_x2 v[4:5], v8, v[2:5], s[36:37] offset:24 glc
	s_waitcnt vmcnt(0)
	v_cmp_ne_u64_e32 vcc, v[4:5], v[9:10]
	s_and_b64 exec, exec, vcc
	s_cbranch_execz .LBB3_857
.LBB3_856:                              ; =>This Inner Loop Header: Depth=1
	s_sleep 1
	global_store_dwordx2 v[6:7], v[4:5], off
	s_waitcnt vmcnt(0)
	global_atomic_cmpswap_x2 v[9:10], v8, v[2:5], s[36:37] offset:24 glc
	s_waitcnt vmcnt(0)
	v_cmp_eq_u64_e32 vcc, v[9:10], v[4:5]
	v_mov_b32_e32 v4, v9
	s_or_b64 s[4:5], vcc, s[4:5]
	v_mov_b32_e32 v5, v10
	s_andn2_b64 exec, exec, s[4:5]
	s_cbranch_execnz .LBB3_856
.LBB3_857:
	s_or_b64 exec, exec, s[16:17]
	s_getpc_b64 s[10:11]
	s_add_u32 s10, s10, .str.7@rel32@lo+4
	s_addc_u32 s11, s11, .str.7@rel32@hi+12
	s_cmp_lg_u64 s[10:11], 0
	s_cbranch_scc0 .LBB3_942
; %bb.858:
	s_waitcnt vmcnt(0)
	v_and_b32_e32 v31, 2, v0
	v_mov_b32_e32 v28, 0
	v_and_b32_e32 v2, -3, v0
	v_mov_b32_e32 v3, v1
	s_mov_b64 s[16:17], 4
	v_mov_b32_e32 v6, 2
	v_mov_b32_e32 v7, 1
	s_branch .LBB3_860
.LBB3_859:                              ;   in Loop: Header=BB3_860 Depth=1
	s_or_b64 exec, exec, s[22:23]
	s_sub_u32 s16, s16, s18
	s_subb_u32 s17, s17, s19
	s_add_u32 s10, s10, s18
	s_addc_u32 s11, s11, s19
	s_cmp_lg_u64 s[16:17], 0
	s_cbranch_scc0 .LBB3_941
.LBB3_860:                              ; =>This Loop Header: Depth=1
                                        ;     Child Loop BB3_863 Depth 2
                                        ;     Child Loop BB3_870 Depth 2
	;; [unrolled: 1-line block ×11, first 2 shown]
	v_cmp_lt_u64_e64 s[4:5], s[16:17], 56
	v_cmp_gt_u64_e64 s[20:21], s[16:17], 7
	s_and_b64 s[4:5], s[4:5], exec
	s_cselect_b32 s19, s17, 0
	s_cselect_b32 s18, s16, 56
	s_and_b64 vcc, exec, s[20:21]
	s_cbranch_vccnz .LBB3_865
; %bb.861:                              ;   in Loop: Header=BB3_860 Depth=1
	v_mov_b32_e32 v10, 0
	s_cmp_eq_u64 s[16:17], 0
	v_mov_b32_e32 v11, 0
	s_mov_b64 s[4:5], 0
	s_cbranch_scc1 .LBB3_864
; %bb.862:                              ;   in Loop: Header=BB3_860 Depth=1
	v_mov_b32_e32 v10, 0
	s_lshl_b64 s[20:21], s[18:19], 3
	s_mov_b64 s[22:23], 0
	v_mov_b32_e32 v11, 0
	s_mov_b64 s[24:25], s[10:11]
.LBB3_863:                              ;   Parent Loop BB3_860 Depth=1
                                        ; =>  This Inner Loop Header: Depth=2
	global_load_ubyte v4, v28, s[24:25]
	s_waitcnt vmcnt(0)
	v_and_b32_e32 v27, 0xffff, v4
	v_lshlrev_b64 v[4:5], s22, v[27:28]
	s_add_u32 s22, s22, 8
	s_addc_u32 s23, s23, 0
	s_add_u32 s24, s24, 1
	s_addc_u32 s25, s25, 0
	v_or_b32_e32 v10, v4, v10
	s_cmp_lg_u32 s20, s22
	v_or_b32_e32 v11, v5, v11
	s_cbranch_scc1 .LBB3_863
.LBB3_864:                              ;   in Loop: Header=BB3_860 Depth=1
	s_mov_b32 s15, 0
	s_andn2_b64 vcc, exec, s[4:5]
	s_mov_b64 s[4:5], s[10:11]
	s_cbranch_vccz .LBB3_866
	s_branch .LBB3_867
.LBB3_865:                              ;   in Loop: Header=BB3_860 Depth=1
                                        ; implicit-def: $vgpr10_vgpr11
                                        ; implicit-def: $sgpr15
	s_mov_b64 s[4:5], s[10:11]
.LBB3_866:                              ;   in Loop: Header=BB3_860 Depth=1
	global_load_dwordx2 v[10:11], v28, s[10:11]
	s_add_i32 s15, s18, -8
	s_add_u32 s4, s10, 8
	s_addc_u32 s5, s11, 0
.LBB3_867:                              ;   in Loop: Header=BB3_860 Depth=1
	s_cmp_gt_u32 s15, 7
	s_cbranch_scc1 .LBB3_871
; %bb.868:                              ;   in Loop: Header=BB3_860 Depth=1
	s_cmp_eq_u32 s15, 0
	s_cbranch_scc1 .LBB3_872
; %bb.869:                              ;   in Loop: Header=BB3_860 Depth=1
	v_mov_b32_e32 v12, 0
	s_mov_b64 s[20:21], 0
	v_mov_b32_e32 v13, 0
	s_mov_b64 s[22:23], 0
.LBB3_870:                              ;   Parent Loop BB3_860 Depth=1
                                        ; =>  This Inner Loop Header: Depth=2
	s_add_u32 s24, s4, s22
	s_addc_u32 s25, s5, s23
	global_load_ubyte v4, v28, s[24:25]
	s_add_u32 s22, s22, 1
	s_addc_u32 s23, s23, 0
	s_waitcnt vmcnt(0)
	v_and_b32_e32 v27, 0xffff, v4
	v_lshlrev_b64 v[4:5], s20, v[27:28]
	s_add_u32 s20, s20, 8
	s_addc_u32 s21, s21, 0
	v_or_b32_e32 v12, v4, v12
	s_cmp_lg_u32 s15, s22
	v_or_b32_e32 v13, v5, v13
	s_cbranch_scc1 .LBB3_870
	s_branch .LBB3_873
.LBB3_871:                              ;   in Loop: Header=BB3_860 Depth=1
                                        ; implicit-def: $vgpr12_vgpr13
                                        ; implicit-def: $sgpr24
	s_branch .LBB3_874
.LBB3_872:                              ;   in Loop: Header=BB3_860 Depth=1
	v_mov_b32_e32 v12, 0
	v_mov_b32_e32 v13, 0
.LBB3_873:                              ;   in Loop: Header=BB3_860 Depth=1
	s_mov_b32 s24, 0
	s_cbranch_execnz .LBB3_875
.LBB3_874:                              ;   in Loop: Header=BB3_860 Depth=1
	global_load_dwordx2 v[12:13], v28, s[4:5]
	s_add_i32 s24, s15, -8
	s_add_u32 s4, s4, 8
	s_addc_u32 s5, s5, 0
.LBB3_875:                              ;   in Loop: Header=BB3_860 Depth=1
	s_cmp_gt_u32 s24, 7
	s_cbranch_scc1 .LBB3_879
; %bb.876:                              ;   in Loop: Header=BB3_860 Depth=1
	s_cmp_eq_u32 s24, 0
	s_cbranch_scc1 .LBB3_880
; %bb.877:                              ;   in Loop: Header=BB3_860 Depth=1
	v_mov_b32_e32 v14, 0
	s_mov_b64 s[20:21], 0
	v_mov_b32_e32 v15, 0
	s_mov_b64 s[22:23], 0
.LBB3_878:                              ;   Parent Loop BB3_860 Depth=1
                                        ; =>  This Inner Loop Header: Depth=2
	s_add_u32 s26, s4, s22
	s_addc_u32 s27, s5, s23
	global_load_ubyte v4, v28, s[26:27]
	s_add_u32 s22, s22, 1
	s_addc_u32 s23, s23, 0
	s_waitcnt vmcnt(0)
	v_and_b32_e32 v27, 0xffff, v4
	v_lshlrev_b64 v[4:5], s20, v[27:28]
	s_add_u32 s20, s20, 8
	s_addc_u32 s21, s21, 0
	v_or_b32_e32 v14, v4, v14
	s_cmp_lg_u32 s24, s22
	v_or_b32_e32 v15, v5, v15
	s_cbranch_scc1 .LBB3_878
	s_branch .LBB3_881
.LBB3_879:                              ;   in Loop: Header=BB3_860 Depth=1
                                        ; implicit-def: $sgpr15
	s_branch .LBB3_882
.LBB3_880:                              ;   in Loop: Header=BB3_860 Depth=1
	v_mov_b32_e32 v14, 0
	v_mov_b32_e32 v15, 0
.LBB3_881:                              ;   in Loop: Header=BB3_860 Depth=1
	s_mov_b32 s15, 0
	s_cbranch_execnz .LBB3_883
.LBB3_882:                              ;   in Loop: Header=BB3_860 Depth=1
	global_load_dwordx2 v[14:15], v28, s[4:5]
	s_add_i32 s15, s24, -8
	s_add_u32 s4, s4, 8
	s_addc_u32 s5, s5, 0
.LBB3_883:                              ;   in Loop: Header=BB3_860 Depth=1
	s_cmp_gt_u32 s15, 7
	s_cbranch_scc1 .LBB3_887
; %bb.884:                              ;   in Loop: Header=BB3_860 Depth=1
	s_cmp_eq_u32 s15, 0
	s_cbranch_scc1 .LBB3_888
; %bb.885:                              ;   in Loop: Header=BB3_860 Depth=1
	v_mov_b32_e32 v16, 0
	s_mov_b64 s[20:21], 0
	v_mov_b32_e32 v17, 0
	s_mov_b64 s[22:23], 0
.LBB3_886:                              ;   Parent Loop BB3_860 Depth=1
                                        ; =>  This Inner Loop Header: Depth=2
	s_add_u32 s24, s4, s22
	s_addc_u32 s25, s5, s23
	global_load_ubyte v4, v28, s[24:25]
	s_add_u32 s22, s22, 1
	s_addc_u32 s23, s23, 0
	s_waitcnt vmcnt(0)
	v_and_b32_e32 v27, 0xffff, v4
	v_lshlrev_b64 v[4:5], s20, v[27:28]
	s_add_u32 s20, s20, 8
	s_addc_u32 s21, s21, 0
	v_or_b32_e32 v16, v4, v16
	s_cmp_lg_u32 s15, s22
	v_or_b32_e32 v17, v5, v17
	s_cbranch_scc1 .LBB3_886
	s_branch .LBB3_889
.LBB3_887:                              ;   in Loop: Header=BB3_860 Depth=1
                                        ; implicit-def: $vgpr16_vgpr17
                                        ; implicit-def: $sgpr24
	s_branch .LBB3_890
.LBB3_888:                              ;   in Loop: Header=BB3_860 Depth=1
	v_mov_b32_e32 v16, 0
	v_mov_b32_e32 v17, 0
.LBB3_889:                              ;   in Loop: Header=BB3_860 Depth=1
	s_mov_b32 s24, 0
	s_cbranch_execnz .LBB3_891
.LBB3_890:                              ;   in Loop: Header=BB3_860 Depth=1
	global_load_dwordx2 v[16:17], v28, s[4:5]
	s_add_i32 s24, s15, -8
	s_add_u32 s4, s4, 8
	s_addc_u32 s5, s5, 0
.LBB3_891:                              ;   in Loop: Header=BB3_860 Depth=1
	s_cmp_gt_u32 s24, 7
	s_cbranch_scc1 .LBB3_895
; %bb.892:                              ;   in Loop: Header=BB3_860 Depth=1
	s_cmp_eq_u32 s24, 0
	s_cbranch_scc1 .LBB3_896
; %bb.893:                              ;   in Loop: Header=BB3_860 Depth=1
	v_mov_b32_e32 v18, 0
	s_mov_b64 s[20:21], 0
	v_mov_b32_e32 v19, 0
	s_mov_b64 s[22:23], 0
.LBB3_894:                              ;   Parent Loop BB3_860 Depth=1
                                        ; =>  This Inner Loop Header: Depth=2
	s_add_u32 s26, s4, s22
	s_addc_u32 s27, s5, s23
	global_load_ubyte v4, v28, s[26:27]
	s_add_u32 s22, s22, 1
	s_addc_u32 s23, s23, 0
	s_waitcnt vmcnt(0)
	v_and_b32_e32 v27, 0xffff, v4
	v_lshlrev_b64 v[4:5], s20, v[27:28]
	s_add_u32 s20, s20, 8
	s_addc_u32 s21, s21, 0
	v_or_b32_e32 v18, v4, v18
	s_cmp_lg_u32 s24, s22
	v_or_b32_e32 v19, v5, v19
	s_cbranch_scc1 .LBB3_894
	s_branch .LBB3_897
.LBB3_895:                              ;   in Loop: Header=BB3_860 Depth=1
                                        ; implicit-def: $sgpr15
	s_branch .LBB3_898
.LBB3_896:                              ;   in Loop: Header=BB3_860 Depth=1
	v_mov_b32_e32 v18, 0
	v_mov_b32_e32 v19, 0
.LBB3_897:                              ;   in Loop: Header=BB3_860 Depth=1
	s_mov_b32 s15, 0
	s_cbranch_execnz .LBB3_899
.LBB3_898:                              ;   in Loop: Header=BB3_860 Depth=1
	global_load_dwordx2 v[18:19], v28, s[4:5]
	s_add_i32 s15, s24, -8
	s_add_u32 s4, s4, 8
	s_addc_u32 s5, s5, 0
.LBB3_899:                              ;   in Loop: Header=BB3_860 Depth=1
	s_cmp_gt_u32 s15, 7
	s_cbranch_scc1 .LBB3_903
; %bb.900:                              ;   in Loop: Header=BB3_860 Depth=1
	s_cmp_eq_u32 s15, 0
	s_cbranch_scc1 .LBB3_904
; %bb.901:                              ;   in Loop: Header=BB3_860 Depth=1
	v_mov_b32_e32 v20, 0
	s_mov_b64 s[20:21], 0
	v_mov_b32_e32 v21, 0
	s_mov_b64 s[22:23], 0
.LBB3_902:                              ;   Parent Loop BB3_860 Depth=1
                                        ; =>  This Inner Loop Header: Depth=2
	s_add_u32 s24, s4, s22
	s_addc_u32 s25, s5, s23
	global_load_ubyte v4, v28, s[24:25]
	s_add_u32 s22, s22, 1
	s_addc_u32 s23, s23, 0
	s_waitcnt vmcnt(0)
	v_and_b32_e32 v27, 0xffff, v4
	v_lshlrev_b64 v[4:5], s20, v[27:28]
	s_add_u32 s20, s20, 8
	s_addc_u32 s21, s21, 0
	v_or_b32_e32 v20, v4, v20
	s_cmp_lg_u32 s15, s22
	v_or_b32_e32 v21, v5, v21
	s_cbranch_scc1 .LBB3_902
	s_branch .LBB3_905
.LBB3_903:                              ;   in Loop: Header=BB3_860 Depth=1
                                        ; implicit-def: $vgpr20_vgpr21
                                        ; implicit-def: $sgpr24
	s_branch .LBB3_906
.LBB3_904:                              ;   in Loop: Header=BB3_860 Depth=1
	v_mov_b32_e32 v20, 0
	v_mov_b32_e32 v21, 0
.LBB3_905:                              ;   in Loop: Header=BB3_860 Depth=1
	s_mov_b32 s24, 0
	s_cbranch_execnz .LBB3_907
.LBB3_906:                              ;   in Loop: Header=BB3_860 Depth=1
	global_load_dwordx2 v[20:21], v28, s[4:5]
	s_add_i32 s24, s15, -8
	s_add_u32 s4, s4, 8
	s_addc_u32 s5, s5, 0
.LBB3_907:                              ;   in Loop: Header=BB3_860 Depth=1
	s_cmp_gt_u32 s24, 7
	s_cbranch_scc1 .LBB3_911
; %bb.908:                              ;   in Loop: Header=BB3_860 Depth=1
	s_cmp_eq_u32 s24, 0
	s_cbranch_scc1 .LBB3_912
; %bb.909:                              ;   in Loop: Header=BB3_860 Depth=1
	v_mov_b32_e32 v22, 0
	s_mov_b64 s[20:21], 0
	v_mov_b32_e32 v23, 0
	s_mov_b64 s[22:23], s[4:5]
.LBB3_910:                              ;   Parent Loop BB3_860 Depth=1
                                        ; =>  This Inner Loop Header: Depth=2
	global_load_ubyte v4, v28, s[22:23]
	s_add_i32 s24, s24, -1
	s_waitcnt vmcnt(0)
	v_and_b32_e32 v27, 0xffff, v4
	v_lshlrev_b64 v[4:5], s20, v[27:28]
	s_add_u32 s20, s20, 8
	s_addc_u32 s21, s21, 0
	s_add_u32 s22, s22, 1
	s_addc_u32 s23, s23, 0
	v_or_b32_e32 v22, v4, v22
	s_cmp_lg_u32 s24, 0
	v_or_b32_e32 v23, v5, v23
	s_cbranch_scc1 .LBB3_910
	s_branch .LBB3_913
.LBB3_911:                              ;   in Loop: Header=BB3_860 Depth=1
	s_branch .LBB3_914
.LBB3_912:                              ;   in Loop: Header=BB3_860 Depth=1
	v_mov_b32_e32 v22, 0
	v_mov_b32_e32 v23, 0
.LBB3_913:                              ;   in Loop: Header=BB3_860 Depth=1
	s_cbranch_execnz .LBB3_915
.LBB3_914:                              ;   in Loop: Header=BB3_860 Depth=1
	global_load_dwordx2 v[22:23], v28, s[4:5]
.LBB3_915:                              ;   in Loop: Header=BB3_860 Depth=1
	v_readfirstlane_b32 s4, v50
	s_waitcnt vmcnt(0)
	v_mov_b32_e32 v4, 0
	v_mov_b32_e32 v5, 0
	v_cmp_eq_u32_e64 s[4:5], s4, v50
	s_and_saveexec_b64 s[20:21], s[4:5]
	s_cbranch_execz .LBB3_921
; %bb.916:                              ;   in Loop: Header=BB3_860 Depth=1
	global_load_dwordx2 v[26:27], v28, s[36:37] offset:24 glc
	s_waitcnt vmcnt(0)
	buffer_wbinvl1_vol
	global_load_dwordx2 v[4:5], v28, s[36:37] offset:40
	global_load_dwordx2 v[8:9], v28, s[36:37]
	s_waitcnt vmcnt(1)
	v_and_b32_e32 v4, v4, v26
	v_and_b32_e32 v5, v5, v27
	v_mul_lo_u32 v5, v5, 24
	v_mul_hi_u32 v24, v4, 24
	v_mul_lo_u32 v4, v4, 24
	v_add_u32_e32 v5, v24, v5
	s_waitcnt vmcnt(0)
	v_add_co_u32_e32 v4, vcc, v8, v4
	v_addc_co_u32_e32 v5, vcc, v9, v5, vcc
	global_load_dwordx2 v[24:25], v[4:5], off glc
	s_waitcnt vmcnt(0)
	global_atomic_cmpswap_x2 v[4:5], v28, v[24:27], s[36:37] offset:24 glc
	s_waitcnt vmcnt(0)
	buffer_wbinvl1_vol
	v_cmp_ne_u64_e32 vcc, v[4:5], v[26:27]
	s_and_saveexec_b64 s[22:23], vcc
	s_cbranch_execz .LBB3_920
; %bb.917:                              ;   in Loop: Header=BB3_860 Depth=1
	s_mov_b64 s[24:25], 0
.LBB3_918:                              ;   Parent Loop BB3_860 Depth=1
                                        ; =>  This Inner Loop Header: Depth=2
	s_sleep 1
	global_load_dwordx2 v[8:9], v28, s[36:37] offset:40
	global_load_dwordx2 v[24:25], v28, s[36:37]
	v_mov_b32_e32 v27, v5
	v_mov_b32_e32 v26, v4
	s_waitcnt vmcnt(1)
	v_and_b32_e32 v4, v8, v26
	s_waitcnt vmcnt(0)
	v_mad_u64_u32 v[4:5], s[26:27], v4, 24, v[24:25]
	v_and_b32_e32 v8, v9, v27
	v_mad_u64_u32 v[8:9], s[26:27], v8, 24, v[5:6]
	v_mov_b32_e32 v5, v8
	global_load_dwordx2 v[24:25], v[4:5], off glc
	s_waitcnt vmcnt(0)
	global_atomic_cmpswap_x2 v[4:5], v28, v[24:27], s[36:37] offset:24 glc
	s_waitcnt vmcnt(0)
	buffer_wbinvl1_vol
	v_cmp_eq_u64_e32 vcc, v[4:5], v[26:27]
	s_or_b64 s[24:25], vcc, s[24:25]
	s_andn2_b64 exec, exec, s[24:25]
	s_cbranch_execnz .LBB3_918
; %bb.919:                              ;   in Loop: Header=BB3_860 Depth=1
	s_or_b64 exec, exec, s[24:25]
.LBB3_920:                              ;   in Loop: Header=BB3_860 Depth=1
	s_or_b64 exec, exec, s[22:23]
.LBB3_921:                              ;   in Loop: Header=BB3_860 Depth=1
	s_or_b64 exec, exec, s[20:21]
	global_load_dwordx2 v[8:9], v28, s[36:37] offset:40
	global_load_dwordx4 v[24:27], v28, s[36:37]
	v_readfirstlane_b32 s20, v4
	v_readfirstlane_b32 s21, v5
	s_mov_b64 s[22:23], exec
	s_waitcnt vmcnt(1)
	v_readfirstlane_b32 s24, v8
	v_readfirstlane_b32 s25, v9
	s_and_b64 s[24:25], s[20:21], s[24:25]
	s_mul_i32 s15, s25, 24
	s_mul_hi_u32 s26, s24, 24
	s_mul_i32 s27, s24, 24
	s_add_i32 s15, s26, s15
	v_mov_b32_e32 v4, s15
	s_waitcnt vmcnt(0)
	v_add_co_u32_e32 v29, vcc, s27, v24
	v_addc_co_u32_e32 v30, vcc, v25, v4, vcc
	s_and_saveexec_b64 s[26:27], s[4:5]
	s_cbranch_execz .LBB3_923
; %bb.922:                              ;   in Loop: Header=BB3_860 Depth=1
	v_mov_b32_e32 v4, s22
	v_mov_b32_e32 v5, s23
	global_store_dwordx4 v[29:30], v[4:7], off offset:8
.LBB3_923:                              ;   in Loop: Header=BB3_860 Depth=1
	s_or_b64 exec, exec, s[26:27]
	s_lshl_b64 s[22:23], s[24:25], 12
	v_mov_b32_e32 v4, s23
	v_add_co_u32_e32 v26, vcc, s22, v26
	v_addc_co_u32_e32 v32, vcc, v27, v4, vcc
	v_cmp_gt_u64_e64 vcc, s[16:17], 56
	v_or_b32_e32 v5, v2, v31
	s_lshl_b32 s15, s18, 2
	v_cndmask_b32_e32 v2, v5, v2, vcc
	s_add_i32 s15, s15, 28
	v_or_b32_e32 v4, 0, v3
	s_and_b32 s15, s15, 0x1e0
	v_and_b32_e32 v2, 0xffffff1f, v2
	v_cndmask_b32_e32 v9, v4, v3, vcc
	v_or_b32_e32 v8, s15, v2
	v_readfirstlane_b32 s22, v26
	v_readfirstlane_b32 s23, v32
	s_nop 4
	global_store_dwordx4 v39, v[8:11], s[22:23]
	global_store_dwordx4 v39, v[12:15], s[22:23] offset:16
	global_store_dwordx4 v39, v[16:19], s[22:23] offset:32
	;; [unrolled: 1-line block ×3, first 2 shown]
	s_and_saveexec_b64 s[22:23], s[4:5]
	s_cbranch_execz .LBB3_931
; %bb.924:                              ;   in Loop: Header=BB3_860 Depth=1
	global_load_dwordx2 v[12:13], v28, s[36:37] offset:32 glc
	global_load_dwordx2 v[2:3], v28, s[36:37] offset:40
	v_mov_b32_e32 v10, s20
	v_mov_b32_e32 v11, s21
	s_waitcnt vmcnt(0)
	v_readfirstlane_b32 s24, v2
	v_readfirstlane_b32 s25, v3
	s_and_b64 s[24:25], s[24:25], s[20:21]
	s_mul_i32 s15, s25, 24
	s_mul_hi_u32 s25, s24, 24
	s_mul_i32 s24, s24, 24
	s_add_i32 s15, s25, s15
	v_mov_b32_e32 v2, s15
	v_add_co_u32_e32 v8, vcc, s24, v24
	v_addc_co_u32_e32 v9, vcc, v25, v2, vcc
	global_store_dwordx2 v[8:9], v[12:13], off
	s_waitcnt vmcnt(0)
	global_atomic_cmpswap_x2 v[4:5], v28, v[10:13], s[36:37] offset:32 glc
	s_waitcnt vmcnt(0)
	v_cmp_ne_u64_e32 vcc, v[4:5], v[12:13]
	s_and_saveexec_b64 s[24:25], vcc
	s_cbranch_execz .LBB3_927
; %bb.925:                              ;   in Loop: Header=BB3_860 Depth=1
	s_mov_b64 s[26:27], 0
.LBB3_926:                              ;   Parent Loop BB3_860 Depth=1
                                        ; =>  This Inner Loop Header: Depth=2
	s_sleep 1
	global_store_dwordx2 v[8:9], v[4:5], off
	v_mov_b32_e32 v2, s20
	v_mov_b32_e32 v3, s21
	s_waitcnt vmcnt(0)
	global_atomic_cmpswap_x2 v[2:3], v28, v[2:5], s[36:37] offset:32 glc
	s_waitcnt vmcnt(0)
	v_cmp_eq_u64_e32 vcc, v[2:3], v[4:5]
	v_mov_b32_e32 v5, v3
	s_or_b64 s[26:27], vcc, s[26:27]
	v_mov_b32_e32 v4, v2
	s_andn2_b64 exec, exec, s[26:27]
	s_cbranch_execnz .LBB3_926
.LBB3_927:                              ;   in Loop: Header=BB3_860 Depth=1
	s_or_b64 exec, exec, s[24:25]
	global_load_dwordx2 v[2:3], v28, s[36:37] offset:16
	s_mov_b64 s[26:27], exec
	v_mbcnt_lo_u32_b32 v4, s26, 0
	v_mbcnt_hi_u32_b32 v4, s27, v4
	v_cmp_eq_u32_e32 vcc, 0, v4
	s_and_saveexec_b64 s[24:25], vcc
	s_cbranch_execz .LBB3_929
; %bb.928:                              ;   in Loop: Header=BB3_860 Depth=1
	s_bcnt1_i32_b64 s15, s[26:27]
	v_mov_b32_e32 v27, s15
	s_waitcnt vmcnt(0)
	global_atomic_add_x2 v[2:3], v[27:28], off offset:8
.LBB3_929:                              ;   in Loop: Header=BB3_860 Depth=1
	s_or_b64 exec, exec, s[24:25]
	s_waitcnt vmcnt(0)
	global_load_dwordx2 v[4:5], v[2:3], off offset:16
	s_waitcnt vmcnt(0)
	v_cmp_eq_u64_e32 vcc, 0, v[4:5]
	s_cbranch_vccnz .LBB3_931
; %bb.930:                              ;   in Loop: Header=BB3_860 Depth=1
	global_load_dword v27, v[2:3], off offset:24
	s_waitcnt vmcnt(0)
	v_and_b32_e32 v2, 0xffffff, v27
	v_readfirstlane_b32 m0, v2
	global_store_dwordx2 v[4:5], v[27:28], off
	s_sendmsg sendmsg(MSG_INTERRUPT)
.LBB3_931:                              ;   in Loop: Header=BB3_860 Depth=1
	s_or_b64 exec, exec, s[22:23]
	v_add_co_u32_e32 v2, vcc, v26, v39
	v_addc_co_u32_e32 v3, vcc, 0, v32, vcc
	s_branch .LBB3_935
.LBB3_932:                              ;   in Loop: Header=BB3_935 Depth=2
	s_or_b64 exec, exec, s[22:23]
	v_readfirstlane_b32 s15, v4
	s_cmp_eq_u32 s15, 0
	s_cbranch_scc1 .LBB3_934
; %bb.933:                              ;   in Loop: Header=BB3_935 Depth=2
	s_sleep 1
	s_cbranch_execnz .LBB3_935
	s_branch .LBB3_937
.LBB3_934:                              ;   in Loop: Header=BB3_860 Depth=1
	s_branch .LBB3_937
.LBB3_935:                              ;   Parent Loop BB3_860 Depth=1
                                        ; =>  This Inner Loop Header: Depth=2
	v_mov_b32_e32 v4, 1
	s_and_saveexec_b64 s[22:23], s[4:5]
	s_cbranch_execz .LBB3_932
; %bb.936:                              ;   in Loop: Header=BB3_935 Depth=2
	global_load_dword v4, v[29:30], off offset:20 glc
	s_waitcnt vmcnt(0)
	buffer_wbinvl1_vol
	v_and_b32_e32 v4, 1, v4
	s_branch .LBB3_932
.LBB3_937:                              ;   in Loop: Header=BB3_860 Depth=1
	global_load_dwordx4 v[2:5], v[2:3], off
	s_and_saveexec_b64 s[22:23], s[4:5]
	s_cbranch_execz .LBB3_859
; %bb.938:                              ;   in Loop: Header=BB3_860 Depth=1
	global_load_dwordx2 v[4:5], v28, s[36:37] offset:40
	global_load_dwordx2 v[12:13], v28, s[36:37] offset:24 glc
	global_load_dwordx2 v[14:15], v28, s[36:37]
	v_mov_b32_e32 v9, s21
	s_waitcnt vmcnt(2)
	v_add_co_u32_e32 v10, vcc, 1, v4
	v_addc_co_u32_e32 v11, vcc, 0, v5, vcc
	v_add_co_u32_e32 v8, vcc, s20, v10
	v_addc_co_u32_e32 v9, vcc, v11, v9, vcc
	v_cmp_eq_u64_e32 vcc, 0, v[8:9]
	v_cndmask_b32_e32 v9, v9, v11, vcc
	v_cndmask_b32_e32 v8, v8, v10, vcc
	v_and_b32_e32 v5, v9, v5
	v_and_b32_e32 v4, v8, v4
	v_mul_lo_u32 v5, v5, 24
	v_mul_hi_u32 v11, v4, 24
	v_mul_lo_u32 v4, v4, 24
	s_waitcnt vmcnt(1)
	v_mov_b32_e32 v10, v12
	v_add_u32_e32 v5, v11, v5
	s_waitcnt vmcnt(0)
	v_add_co_u32_e32 v4, vcc, v14, v4
	v_addc_co_u32_e32 v5, vcc, v15, v5, vcc
	global_store_dwordx2 v[4:5], v[12:13], off
	v_mov_b32_e32 v11, v13
	s_waitcnt vmcnt(0)
	global_atomic_cmpswap_x2 v[10:11], v28, v[8:11], s[36:37] offset:24 glc
	s_waitcnt vmcnt(0)
	v_cmp_ne_u64_e32 vcc, v[10:11], v[12:13]
	s_and_b64 exec, exec, vcc
	s_cbranch_execz .LBB3_859
; %bb.939:                              ;   in Loop: Header=BB3_860 Depth=1
	s_mov_b64 s[4:5], 0
.LBB3_940:                              ;   Parent Loop BB3_860 Depth=1
                                        ; =>  This Inner Loop Header: Depth=2
	s_sleep 1
	global_store_dwordx2 v[4:5], v[10:11], off
	s_waitcnt vmcnt(0)
	global_atomic_cmpswap_x2 v[12:13], v28, v[8:11], s[36:37] offset:24 glc
	s_waitcnt vmcnt(0)
	v_cmp_eq_u64_e32 vcc, v[12:13], v[10:11]
	v_mov_b32_e32 v10, v12
	s_or_b64 s[4:5], vcc, s[4:5]
	v_mov_b32_e32 v11, v13
	s_andn2_b64 exec, exec, s[4:5]
	s_cbranch_execnz .LBB3_940
	s_branch .LBB3_859
.LBB3_941:
	s_branch .LBB3_969
.LBB3_942:
                                        ; implicit-def: $vgpr2_vgpr3
	s_cbranch_execz .LBB3_969
; %bb.943:
	v_readfirstlane_b32 s4, v50
	v_mov_b32_e32 v8, 0
	v_mov_b32_e32 v9, 0
	v_cmp_eq_u32_e64 s[4:5], s4, v50
	s_and_saveexec_b64 s[10:11], s[4:5]
	s_cbranch_execz .LBB3_949
; %bb.944:
	s_waitcnt vmcnt(0)
	v_mov_b32_e32 v2, 0
	global_load_dwordx2 v[5:6], v2, s[36:37] offset:24 glc
	s_waitcnt vmcnt(0)
	buffer_wbinvl1_vol
	global_load_dwordx2 v[3:4], v2, s[36:37] offset:40
	global_load_dwordx2 v[7:8], v2, s[36:37]
	s_waitcnt vmcnt(1)
	v_and_b32_e32 v3, v3, v5
	v_and_b32_e32 v4, v4, v6
	v_mul_lo_u32 v4, v4, 24
	v_mul_hi_u32 v9, v3, 24
	v_mul_lo_u32 v3, v3, 24
	v_add_u32_e32 v4, v9, v4
	s_waitcnt vmcnt(0)
	v_add_co_u32_e32 v3, vcc, v7, v3
	v_addc_co_u32_e32 v4, vcc, v8, v4, vcc
	global_load_dwordx2 v[3:4], v[3:4], off glc
	s_waitcnt vmcnt(0)
	global_atomic_cmpswap_x2 v[8:9], v2, v[3:6], s[36:37] offset:24 glc
	s_waitcnt vmcnt(0)
	buffer_wbinvl1_vol
	v_cmp_ne_u64_e32 vcc, v[8:9], v[5:6]
	s_and_saveexec_b64 s[16:17], vcc
	s_cbranch_execz .LBB3_948
; %bb.945:
	s_mov_b64 s[18:19], 0
.LBB3_946:                              ; =>This Inner Loop Header: Depth=1
	s_sleep 1
	global_load_dwordx2 v[3:4], v2, s[36:37] offset:40
	global_load_dwordx2 v[10:11], v2, s[36:37]
	v_mov_b32_e32 v5, v8
	v_mov_b32_e32 v6, v9
	s_waitcnt vmcnt(1)
	v_and_b32_e32 v3, v3, v5
	s_waitcnt vmcnt(0)
	v_mad_u64_u32 v[7:8], s[20:21], v3, 24, v[10:11]
	v_and_b32_e32 v4, v4, v6
	v_mov_b32_e32 v3, v8
	v_mad_u64_u32 v[3:4], s[20:21], v4, 24, v[3:4]
	v_mov_b32_e32 v8, v3
	global_load_dwordx2 v[3:4], v[7:8], off glc
	s_waitcnt vmcnt(0)
	global_atomic_cmpswap_x2 v[8:9], v2, v[3:6], s[36:37] offset:24 glc
	s_waitcnt vmcnt(0)
	buffer_wbinvl1_vol
	v_cmp_eq_u64_e32 vcc, v[8:9], v[5:6]
	s_or_b64 s[18:19], vcc, s[18:19]
	s_andn2_b64 exec, exec, s[18:19]
	s_cbranch_execnz .LBB3_946
; %bb.947:
	s_or_b64 exec, exec, s[18:19]
.LBB3_948:
	s_or_b64 exec, exec, s[16:17]
.LBB3_949:
	s_or_b64 exec, exec, s[10:11]
	s_waitcnt vmcnt(0)
	v_mov_b32_e32 v2, 0
	global_load_dwordx2 v[10:11], v2, s[36:37] offset:40
	global_load_dwordx4 v[4:7], v2, s[36:37]
	v_readfirstlane_b32 s10, v8
	v_readfirstlane_b32 s11, v9
	s_mov_b64 s[16:17], exec
	s_waitcnt vmcnt(1)
	v_readfirstlane_b32 s18, v10
	v_readfirstlane_b32 s19, v11
	s_and_b64 s[18:19], s[10:11], s[18:19]
	s_mul_i32 s15, s19, 24
	s_mul_hi_u32 s20, s18, 24
	s_mul_i32 s21, s18, 24
	s_add_i32 s15, s20, s15
	v_mov_b32_e32 v3, s15
	s_waitcnt vmcnt(0)
	v_add_co_u32_e32 v8, vcc, s21, v4
	v_addc_co_u32_e32 v9, vcc, v5, v3, vcc
	s_and_saveexec_b64 s[20:21], s[4:5]
	s_cbranch_execz .LBB3_951
; %bb.950:
	v_mov_b32_e32 v10, s16
	v_mov_b32_e32 v11, s17
	;; [unrolled: 1-line block ×4, first 2 shown]
	global_store_dwordx4 v[8:9], v[10:13], off offset:8
.LBB3_951:
	s_or_b64 exec, exec, s[20:21]
	s_lshl_b64 s[16:17], s[18:19], 12
	v_mov_b32_e32 v3, s17
	v_add_co_u32_e32 v10, vcc, s16, v6
	v_addc_co_u32_e32 v11, vcc, v7, v3, vcc
	s_movk_i32 s15, 0xff1f
	v_and_or_b32 v0, v0, s15, 32
	s_mov_b32 s16, 0
	v_mov_b32_e32 v3, v2
	v_readfirstlane_b32 s20, v10
	v_readfirstlane_b32 s21, v11
	v_add_co_u32_e32 v6, vcc, v10, v39
	s_mov_b32 s17, s16
	s_mov_b32 s18, s16
	;; [unrolled: 1-line block ×3, first 2 shown]
	s_nop 0
	global_store_dwordx4 v39, v[0:3], s[20:21]
	v_addc_co_u32_e32 v7, vcc, 0, v11, vcc
	v_mov_b32_e32 v0, s16
	v_mov_b32_e32 v1, s17
	;; [unrolled: 1-line block ×4, first 2 shown]
	global_store_dwordx4 v39, v[0:3], s[20:21] offset:16
	global_store_dwordx4 v39, v[0:3], s[20:21] offset:32
	;; [unrolled: 1-line block ×3, first 2 shown]
	s_and_saveexec_b64 s[16:17], s[4:5]
	s_cbranch_execz .LBB3_959
; %bb.952:
	v_mov_b32_e32 v10, 0
	global_load_dwordx2 v[13:14], v10, s[36:37] offset:32 glc
	global_load_dwordx2 v[0:1], v10, s[36:37] offset:40
	v_mov_b32_e32 v11, s10
	v_mov_b32_e32 v12, s11
	s_waitcnt vmcnt(0)
	v_readfirstlane_b32 s18, v0
	v_readfirstlane_b32 s19, v1
	s_and_b64 s[18:19], s[18:19], s[10:11]
	s_mul_i32 s15, s19, 24
	s_mul_hi_u32 s19, s18, 24
	s_mul_i32 s18, s18, 24
	s_add_i32 s15, s19, s15
	v_mov_b32_e32 v0, s15
	v_add_co_u32_e32 v4, vcc, s18, v4
	v_addc_co_u32_e32 v5, vcc, v5, v0, vcc
	global_store_dwordx2 v[4:5], v[13:14], off
	s_waitcnt vmcnt(0)
	global_atomic_cmpswap_x2 v[2:3], v10, v[11:14], s[36:37] offset:32 glc
	s_waitcnt vmcnt(0)
	v_cmp_ne_u64_e32 vcc, v[2:3], v[13:14]
	s_and_saveexec_b64 s[18:19], vcc
	s_cbranch_execz .LBB3_955
; %bb.953:
	s_mov_b64 s[20:21], 0
.LBB3_954:                              ; =>This Inner Loop Header: Depth=1
	s_sleep 1
	global_store_dwordx2 v[4:5], v[2:3], off
	v_mov_b32_e32 v0, s10
	v_mov_b32_e32 v1, s11
	s_waitcnt vmcnt(0)
	global_atomic_cmpswap_x2 v[0:1], v10, v[0:3], s[36:37] offset:32 glc
	s_waitcnt vmcnt(0)
	v_cmp_eq_u64_e32 vcc, v[0:1], v[2:3]
	v_mov_b32_e32 v3, v1
	s_or_b64 s[20:21], vcc, s[20:21]
	v_mov_b32_e32 v2, v0
	s_andn2_b64 exec, exec, s[20:21]
	s_cbranch_execnz .LBB3_954
.LBB3_955:
	s_or_b64 exec, exec, s[18:19]
	v_mov_b32_e32 v3, 0
	global_load_dwordx2 v[0:1], v3, s[36:37] offset:16
	s_mov_b64 s[18:19], exec
	v_mbcnt_lo_u32_b32 v2, s18, 0
	v_mbcnt_hi_u32_b32 v2, s19, v2
	v_cmp_eq_u32_e32 vcc, 0, v2
	s_and_saveexec_b64 s[20:21], vcc
	s_cbranch_execz .LBB3_957
; %bb.956:
	s_bcnt1_i32_b64 s15, s[18:19]
	v_mov_b32_e32 v2, s15
	s_waitcnt vmcnt(0)
	global_atomic_add_x2 v[0:1], v[2:3], off offset:8
.LBB3_957:
	s_or_b64 exec, exec, s[20:21]
	s_waitcnt vmcnt(0)
	global_load_dwordx2 v[2:3], v[0:1], off offset:16
	s_waitcnt vmcnt(0)
	v_cmp_eq_u64_e32 vcc, 0, v[2:3]
	s_cbranch_vccnz .LBB3_959
; %bb.958:
	global_load_dword v0, v[0:1], off offset:24
	v_mov_b32_e32 v1, 0
	s_waitcnt vmcnt(0)
	global_store_dwordx2 v[2:3], v[0:1], off
	v_and_b32_e32 v0, 0xffffff, v0
	v_readfirstlane_b32 m0, v0
	s_sendmsg sendmsg(MSG_INTERRUPT)
.LBB3_959:
	s_or_b64 exec, exec, s[16:17]
	s_branch .LBB3_963
.LBB3_960:                              ;   in Loop: Header=BB3_963 Depth=1
	s_or_b64 exec, exec, s[16:17]
	v_readfirstlane_b32 s15, v0
	s_cmp_eq_u32 s15, 0
	s_cbranch_scc1 .LBB3_962
; %bb.961:                              ;   in Loop: Header=BB3_963 Depth=1
	s_sleep 1
	s_cbranch_execnz .LBB3_963
	s_branch .LBB3_965
.LBB3_962:
	s_branch .LBB3_965
.LBB3_963:                              ; =>This Inner Loop Header: Depth=1
	v_mov_b32_e32 v0, 1
	s_and_saveexec_b64 s[16:17], s[4:5]
	s_cbranch_execz .LBB3_960
; %bb.964:                              ;   in Loop: Header=BB3_963 Depth=1
	global_load_dword v0, v[8:9], off offset:20 glc
	s_waitcnt vmcnt(0)
	buffer_wbinvl1_vol
	v_and_b32_e32 v0, 1, v0
	s_branch .LBB3_960
.LBB3_965:
	global_load_dwordx2 v[2:3], v[6:7], off
	s_and_saveexec_b64 s[16:17], s[4:5]
	s_cbranch_execz .LBB3_968
; %bb.966:
	v_mov_b32_e32 v8, 0
	global_load_dwordx2 v[0:1], v8, s[36:37] offset:40
	global_load_dwordx2 v[9:10], v8, s[36:37] offset:24 glc
	global_load_dwordx2 v[11:12], v8, s[36:37]
	v_mov_b32_e32 v5, s11
	s_mov_b64 s[4:5], 0
	s_waitcnt vmcnt(2)
	v_add_co_u32_e32 v6, vcc, 1, v0
	v_addc_co_u32_e32 v7, vcc, 0, v1, vcc
	v_add_co_u32_e32 v4, vcc, s10, v6
	v_addc_co_u32_e32 v5, vcc, v7, v5, vcc
	v_cmp_eq_u64_e32 vcc, 0, v[4:5]
	v_cndmask_b32_e32 v5, v5, v7, vcc
	v_cndmask_b32_e32 v4, v4, v6, vcc
	v_and_b32_e32 v1, v5, v1
	v_and_b32_e32 v0, v4, v0
	v_mul_lo_u32 v1, v1, 24
	v_mul_hi_u32 v7, v0, 24
	v_mul_lo_u32 v0, v0, 24
	s_waitcnt vmcnt(1)
	v_mov_b32_e32 v6, v9
	v_add_u32_e32 v1, v7, v1
	s_waitcnt vmcnt(0)
	v_add_co_u32_e32 v0, vcc, v11, v0
	v_addc_co_u32_e32 v1, vcc, v12, v1, vcc
	global_store_dwordx2 v[0:1], v[9:10], off
	v_mov_b32_e32 v7, v10
	s_waitcnt vmcnt(0)
	global_atomic_cmpswap_x2 v[6:7], v8, v[4:7], s[36:37] offset:24 glc
	s_waitcnt vmcnt(0)
	v_cmp_ne_u64_e32 vcc, v[6:7], v[9:10]
	s_and_b64 exec, exec, vcc
	s_cbranch_execz .LBB3_968
.LBB3_967:                              ; =>This Inner Loop Header: Depth=1
	s_sleep 1
	global_store_dwordx2 v[0:1], v[6:7], off
	s_waitcnt vmcnt(0)
	global_atomic_cmpswap_x2 v[9:10], v8, v[4:7], s[36:37] offset:24 glc
	s_waitcnt vmcnt(0)
	v_cmp_eq_u64_e32 vcc, v[9:10], v[6:7]
	v_mov_b32_e32 v6, v9
	s_or_b64 s[4:5], vcc, s[4:5]
	v_mov_b32_e32 v7, v10
	s_andn2_b64 exec, exec, s[4:5]
	s_cbranch_execnz .LBB3_967
.LBB3_968:
	s_or_b64 exec, exec, s[16:17]
.LBB3_969:
	v_readfirstlane_b32 s4, v50
	s_waitcnt vmcnt(0)
	v_mov_b32_e32 v0, 0
	v_mov_b32_e32 v1, 0
	v_cmp_eq_u32_e64 s[4:5], s4, v50
	s_and_saveexec_b64 s[10:11], s[4:5]
	s_cbranch_execz .LBB3_975
; %bb.970:
	v_mov_b32_e32 v4, 0
	global_load_dwordx2 v[7:8], v4, s[36:37] offset:24 glc
	s_waitcnt vmcnt(0)
	buffer_wbinvl1_vol
	global_load_dwordx2 v[0:1], v4, s[36:37] offset:40
	global_load_dwordx2 v[5:6], v4, s[36:37]
	s_waitcnt vmcnt(1)
	v_and_b32_e32 v0, v0, v7
	v_and_b32_e32 v1, v1, v8
	v_mul_lo_u32 v1, v1, 24
	v_mul_hi_u32 v9, v0, 24
	v_mul_lo_u32 v0, v0, 24
	v_add_u32_e32 v1, v9, v1
	s_waitcnt vmcnt(0)
	v_add_co_u32_e32 v0, vcc, v5, v0
	v_addc_co_u32_e32 v1, vcc, v6, v1, vcc
	global_load_dwordx2 v[5:6], v[0:1], off glc
	s_waitcnt vmcnt(0)
	global_atomic_cmpswap_x2 v[0:1], v4, v[5:8], s[36:37] offset:24 glc
	s_waitcnt vmcnt(0)
	buffer_wbinvl1_vol
	v_cmp_ne_u64_e32 vcc, v[0:1], v[7:8]
	s_and_saveexec_b64 s[16:17], vcc
	s_cbranch_execz .LBB3_974
; %bb.971:
	s_mov_b64 s[18:19], 0
.LBB3_972:                              ; =>This Inner Loop Header: Depth=1
	s_sleep 1
	global_load_dwordx2 v[5:6], v4, s[36:37] offset:40
	global_load_dwordx2 v[9:10], v4, s[36:37]
	v_mov_b32_e32 v8, v1
	v_mov_b32_e32 v7, v0
	s_waitcnt vmcnt(1)
	v_and_b32_e32 v0, v5, v7
	s_waitcnt vmcnt(0)
	v_mad_u64_u32 v[0:1], s[20:21], v0, 24, v[9:10]
	v_and_b32_e32 v5, v6, v8
	v_mad_u64_u32 v[5:6], s[20:21], v5, 24, v[1:2]
	v_mov_b32_e32 v1, v5
	global_load_dwordx2 v[5:6], v[0:1], off glc
	s_waitcnt vmcnt(0)
	global_atomic_cmpswap_x2 v[0:1], v4, v[5:8], s[36:37] offset:24 glc
	s_waitcnt vmcnt(0)
	buffer_wbinvl1_vol
	v_cmp_eq_u64_e32 vcc, v[0:1], v[7:8]
	s_or_b64 s[18:19], vcc, s[18:19]
	s_andn2_b64 exec, exec, s[18:19]
	s_cbranch_execnz .LBB3_972
; %bb.973:
	s_or_b64 exec, exec, s[18:19]
.LBB3_974:
	s_or_b64 exec, exec, s[16:17]
.LBB3_975:
	s_or_b64 exec, exec, s[10:11]
	v_mov_b32_e32 v5, 0
	global_load_dwordx2 v[10:11], v5, s[36:37] offset:40
	global_load_dwordx4 v[6:9], v5, s[36:37]
	v_readfirstlane_b32 s10, v0
	v_readfirstlane_b32 s11, v1
	s_mov_b64 s[16:17], exec
	s_waitcnt vmcnt(1)
	v_readfirstlane_b32 s18, v10
	v_readfirstlane_b32 s19, v11
	s_and_b64 s[18:19], s[10:11], s[18:19]
	s_mul_i32 s15, s19, 24
	s_mul_hi_u32 s20, s18, 24
	s_mul_i32 s21, s18, 24
	s_add_i32 s15, s20, s15
	v_mov_b32_e32 v0, s15
	s_waitcnt vmcnt(0)
	v_add_co_u32_e32 v10, vcc, s21, v6
	v_addc_co_u32_e32 v11, vcc, v7, v0, vcc
	s_and_saveexec_b64 s[20:21], s[4:5]
	s_cbranch_execz .LBB3_977
; %bb.976:
	v_mov_b32_e32 v12, s16
	v_mov_b32_e32 v13, s17
	;; [unrolled: 1-line block ×4, first 2 shown]
	global_store_dwordx4 v[10:11], v[12:15], off offset:8
.LBB3_977:
	s_or_b64 exec, exec, s[20:21]
	s_lshl_b64 s[16:17], s[18:19], 12
	v_mov_b32_e32 v0, s17
	v_add_co_u32_e32 v1, vcc, s16, v8
	v_addc_co_u32_e32 v0, vcc, v9, v0, vcc
	s_movk_i32 s15, 0xff1d
	v_and_or_b32 v2, v2, s15, 34
	s_mov_b32 s16, 0
	v_mov_b32_e32 v4, 0x217
	v_readfirstlane_b32 s20, v1
	v_readfirstlane_b32 s21, v0
	s_mov_b32 s17, s16
	s_mov_b32 s18, s16
	;; [unrolled: 1-line block ×3, first 2 shown]
	s_nop 1
	global_store_dwordx4 v39, v[2:5], s[20:21]
	v_mov_b32_e32 v0, s16
	v_mov_b32_e32 v1, s17
	;; [unrolled: 1-line block ×4, first 2 shown]
	global_store_dwordx4 v39, v[0:3], s[20:21] offset:16
	global_store_dwordx4 v39, v[0:3], s[20:21] offset:32
	;; [unrolled: 1-line block ×3, first 2 shown]
	s_and_saveexec_b64 s[16:17], s[4:5]
	s_cbranch_execz .LBB3_985
; %bb.978:
	v_mov_b32_e32 v8, 0
	global_load_dwordx2 v[14:15], v8, s[36:37] offset:32 glc
	global_load_dwordx2 v[0:1], v8, s[36:37] offset:40
	v_mov_b32_e32 v12, s10
	v_mov_b32_e32 v13, s11
	s_waitcnt vmcnt(0)
	v_readfirstlane_b32 s18, v0
	v_readfirstlane_b32 s19, v1
	s_and_b64 s[18:19], s[18:19], s[10:11]
	s_mul_i32 s15, s19, 24
	s_mul_hi_u32 s19, s18, 24
	s_mul_i32 s18, s18, 24
	s_add_i32 s15, s19, s15
	v_mov_b32_e32 v0, s15
	v_add_co_u32_e32 v4, vcc, s18, v6
	v_addc_co_u32_e32 v5, vcc, v7, v0, vcc
	global_store_dwordx2 v[4:5], v[14:15], off
	s_waitcnt vmcnt(0)
	global_atomic_cmpswap_x2 v[2:3], v8, v[12:15], s[36:37] offset:32 glc
	s_waitcnt vmcnt(0)
	v_cmp_ne_u64_e32 vcc, v[2:3], v[14:15]
	s_and_saveexec_b64 s[18:19], vcc
	s_cbranch_execz .LBB3_981
; %bb.979:
	s_mov_b64 s[20:21], 0
.LBB3_980:                              ; =>This Inner Loop Header: Depth=1
	s_sleep 1
	global_store_dwordx2 v[4:5], v[2:3], off
	v_mov_b32_e32 v0, s10
	v_mov_b32_e32 v1, s11
	s_waitcnt vmcnt(0)
	global_atomic_cmpswap_x2 v[0:1], v8, v[0:3], s[36:37] offset:32 glc
	s_waitcnt vmcnt(0)
	v_cmp_eq_u64_e32 vcc, v[0:1], v[2:3]
	v_mov_b32_e32 v3, v1
	s_or_b64 s[20:21], vcc, s[20:21]
	v_mov_b32_e32 v2, v0
	s_andn2_b64 exec, exec, s[20:21]
	s_cbranch_execnz .LBB3_980
.LBB3_981:
	s_or_b64 exec, exec, s[18:19]
	v_mov_b32_e32 v3, 0
	global_load_dwordx2 v[0:1], v3, s[36:37] offset:16
	s_mov_b64 s[18:19], exec
	v_mbcnt_lo_u32_b32 v2, s18, 0
	v_mbcnt_hi_u32_b32 v2, s19, v2
	v_cmp_eq_u32_e32 vcc, 0, v2
	s_and_saveexec_b64 s[20:21], vcc
	s_cbranch_execz .LBB3_983
; %bb.982:
	s_bcnt1_i32_b64 s15, s[18:19]
	v_mov_b32_e32 v2, s15
	s_waitcnt vmcnt(0)
	global_atomic_add_x2 v[0:1], v[2:3], off offset:8
.LBB3_983:
	s_or_b64 exec, exec, s[20:21]
	s_waitcnt vmcnt(0)
	global_load_dwordx2 v[2:3], v[0:1], off offset:16
	s_waitcnt vmcnt(0)
	v_cmp_eq_u64_e32 vcc, 0, v[2:3]
	s_cbranch_vccnz .LBB3_985
; %bb.984:
	global_load_dword v0, v[0:1], off offset:24
	v_mov_b32_e32 v1, 0
	s_waitcnt vmcnt(0)
	global_store_dwordx2 v[2:3], v[0:1], off
	v_and_b32_e32 v0, 0xffffff, v0
	v_readfirstlane_b32 m0, v0
	s_sendmsg sendmsg(MSG_INTERRUPT)
.LBB3_985:
	s_or_b64 exec, exec, s[16:17]
	s_branch .LBB3_989
.LBB3_986:                              ;   in Loop: Header=BB3_989 Depth=1
	s_or_b64 exec, exec, s[16:17]
	v_readfirstlane_b32 s15, v0
	s_cmp_eq_u32 s15, 0
	s_cbranch_scc1 .LBB3_988
; %bb.987:                              ;   in Loop: Header=BB3_989 Depth=1
	s_sleep 1
	s_cbranch_execnz .LBB3_989
	s_branch .LBB3_991
.LBB3_988:
	s_branch .LBB3_991
.LBB3_989:                              ; =>This Inner Loop Header: Depth=1
	v_mov_b32_e32 v0, 1
	s_and_saveexec_b64 s[16:17], s[4:5]
	s_cbranch_execz .LBB3_986
; %bb.990:                              ;   in Loop: Header=BB3_989 Depth=1
	global_load_dword v0, v[10:11], off offset:20 glc
	s_waitcnt vmcnt(0)
	buffer_wbinvl1_vol
	v_and_b32_e32 v0, 1, v0
	s_branch .LBB3_986
.LBB3_991:
	s_and_saveexec_b64 s[16:17], s[4:5]
	s_cbranch_execz .LBB3_994
; %bb.992:
	v_mov_b32_e32 v6, 0
	global_load_dwordx2 v[2:3], v6, s[36:37] offset:40
	global_load_dwordx2 v[7:8], v6, s[36:37] offset:24 glc
	global_load_dwordx2 v[4:5], v6, s[36:37]
	v_mov_b32_e32 v1, s11
	s_mov_b64 s[4:5], 0
	s_waitcnt vmcnt(2)
	v_add_co_u32_e32 v9, vcc, 1, v2
	v_addc_co_u32_e32 v10, vcc, 0, v3, vcc
	v_add_co_u32_e32 v0, vcc, s10, v9
	v_addc_co_u32_e32 v1, vcc, v10, v1, vcc
	v_cmp_eq_u64_e32 vcc, 0, v[0:1]
	v_cndmask_b32_e32 v1, v1, v10, vcc
	v_cndmask_b32_e32 v0, v0, v9, vcc
	v_and_b32_e32 v3, v1, v3
	v_and_b32_e32 v2, v0, v2
	v_mul_lo_u32 v3, v3, 24
	v_mul_hi_u32 v9, v2, 24
	v_mul_lo_u32 v10, v2, 24
	s_waitcnt vmcnt(1)
	v_mov_b32_e32 v2, v7
	v_add_u32_e32 v3, v9, v3
	s_waitcnt vmcnt(0)
	v_add_co_u32_e32 v4, vcc, v4, v10
	v_addc_co_u32_e32 v5, vcc, v5, v3, vcc
	global_store_dwordx2 v[4:5], v[7:8], off
	v_mov_b32_e32 v3, v8
	s_waitcnt vmcnt(0)
	global_atomic_cmpswap_x2 v[2:3], v6, v[0:3], s[36:37] offset:24 glc
	s_waitcnt vmcnt(0)
	v_cmp_ne_u64_e32 vcc, v[2:3], v[7:8]
	s_and_b64 exec, exec, vcc
	s_cbranch_execz .LBB3_994
.LBB3_993:                              ; =>This Inner Loop Header: Depth=1
	s_sleep 1
	global_store_dwordx2 v[4:5], v[2:3], off
	s_waitcnt vmcnt(0)
	global_atomic_cmpswap_x2 v[7:8], v6, v[0:3], s[36:37] offset:24 glc
	s_waitcnt vmcnt(0)
	v_cmp_eq_u64_e32 vcc, v[7:8], v[2:3]
	v_mov_b32_e32 v2, v7
	s_or_b64 s[4:5], vcc, s[4:5]
	v_mov_b32_e32 v3, v8
	s_andn2_b64 exec, exec, s[4:5]
	s_cbranch_execnz .LBB3_993
.LBB3_994:
	s_or_b64 exec, exec, s[16:17]
	v_readfirstlane_b32 s4, v50
	v_mov_b32_e32 v5, 0
	v_mov_b32_e32 v6, 0
	v_cmp_eq_u32_e64 s[4:5], s4, v50
	s_and_saveexec_b64 s[10:11], s[4:5]
	s_cbranch_execz .LBB3_1000
; %bb.995:
	v_mov_b32_e32 v0, 0
	global_load_dwordx2 v[3:4], v0, s[36:37] offset:24 glc
	s_waitcnt vmcnt(0)
	buffer_wbinvl1_vol
	global_load_dwordx2 v[1:2], v0, s[36:37] offset:40
	global_load_dwordx2 v[5:6], v0, s[36:37]
	s_waitcnt vmcnt(1)
	v_and_b32_e32 v1, v1, v3
	v_and_b32_e32 v2, v2, v4
	v_mul_lo_u32 v2, v2, 24
	v_mul_hi_u32 v7, v1, 24
	v_mul_lo_u32 v1, v1, 24
	v_add_u32_e32 v2, v7, v2
	s_waitcnt vmcnt(0)
	v_add_co_u32_e32 v1, vcc, v5, v1
	v_addc_co_u32_e32 v2, vcc, v6, v2, vcc
	global_load_dwordx2 v[1:2], v[1:2], off glc
	s_waitcnt vmcnt(0)
	global_atomic_cmpswap_x2 v[5:6], v0, v[1:4], s[36:37] offset:24 glc
	s_waitcnt vmcnt(0)
	buffer_wbinvl1_vol
	v_cmp_ne_u64_e32 vcc, v[5:6], v[3:4]
	s_and_saveexec_b64 s[16:17], vcc
	s_cbranch_execz .LBB3_999
; %bb.996:
	s_mov_b64 s[18:19], 0
.LBB3_997:                              ; =>This Inner Loop Header: Depth=1
	s_sleep 1
	global_load_dwordx2 v[1:2], v0, s[36:37] offset:40
	global_load_dwordx2 v[7:8], v0, s[36:37]
	v_mov_b32_e32 v3, v5
	v_mov_b32_e32 v4, v6
	s_waitcnt vmcnt(1)
	v_and_b32_e32 v1, v1, v3
	s_waitcnt vmcnt(0)
	v_mad_u64_u32 v[5:6], s[20:21], v1, 24, v[7:8]
	v_and_b32_e32 v2, v2, v4
	v_mov_b32_e32 v1, v6
	v_mad_u64_u32 v[1:2], s[20:21], v2, 24, v[1:2]
	v_mov_b32_e32 v6, v1
	global_load_dwordx2 v[1:2], v[5:6], off glc
	s_waitcnt vmcnt(0)
	global_atomic_cmpswap_x2 v[5:6], v0, v[1:4], s[36:37] offset:24 glc
	s_waitcnt vmcnt(0)
	buffer_wbinvl1_vol
	v_cmp_eq_u64_e32 vcc, v[5:6], v[3:4]
	s_or_b64 s[18:19], vcc, s[18:19]
	s_andn2_b64 exec, exec, s[18:19]
	s_cbranch_execnz .LBB3_997
; %bb.998:
	s_or_b64 exec, exec, s[18:19]
.LBB3_999:
	s_or_b64 exec, exec, s[16:17]
.LBB3_1000:
	s_or_b64 exec, exec, s[10:11]
	v_mov_b32_e32 v4, 0
	global_load_dwordx2 v[7:8], v4, s[36:37] offset:40
	global_load_dwordx4 v[0:3], v4, s[36:37]
	v_readfirstlane_b32 s10, v5
	v_readfirstlane_b32 s11, v6
	s_mov_b64 s[16:17], exec
	s_waitcnt vmcnt(1)
	v_readfirstlane_b32 s18, v7
	v_readfirstlane_b32 s19, v8
	s_and_b64 s[18:19], s[10:11], s[18:19]
	s_mul_i32 s15, s19, 24
	s_mul_hi_u32 s20, s18, 24
	s_mul_i32 s21, s18, 24
	s_add_i32 s15, s20, s15
	v_mov_b32_e32 v5, s15
	s_waitcnt vmcnt(0)
	v_add_co_u32_e32 v7, vcc, s21, v0
	v_addc_co_u32_e32 v8, vcc, v1, v5, vcc
	s_and_saveexec_b64 s[20:21], s[4:5]
	s_cbranch_execz .LBB3_1002
; %bb.1001:
	v_mov_b32_e32 v9, s16
	v_mov_b32_e32 v10, s17
	;; [unrolled: 1-line block ×4, first 2 shown]
	global_store_dwordx4 v[7:8], v[9:12], off offset:8
.LBB3_1002:
	s_or_b64 exec, exec, s[20:21]
	s_lshl_b64 s[16:17], s[18:19], 12
	v_mov_b32_e32 v5, s17
	v_add_co_u32_e32 v2, vcc, s16, v2
	v_addc_co_u32_e32 v11, vcc, v3, v5, vcc
	s_mov_b32 s16, 0
	v_mov_b32_e32 v3, 33
	v_mov_b32_e32 v5, v4
	;; [unrolled: 1-line block ×3, first 2 shown]
	v_readfirstlane_b32 s20, v2
	v_readfirstlane_b32 s21, v11
	v_add_co_u32_e32 v9, vcc, v2, v39
	s_mov_b32 s17, s16
	s_mov_b32 s18, s16
	;; [unrolled: 1-line block ×3, first 2 shown]
	s_nop 0
	global_store_dwordx4 v39, v[3:6], s[20:21]
	v_mov_b32_e32 v2, s16
	v_addc_co_u32_e32 v10, vcc, 0, v11, vcc
	v_mov_b32_e32 v3, s17
	v_mov_b32_e32 v4, s18
	;; [unrolled: 1-line block ×3, first 2 shown]
	global_store_dwordx4 v39, v[2:5], s[20:21] offset:16
	global_store_dwordx4 v39, v[2:5], s[20:21] offset:32
	;; [unrolled: 1-line block ×3, first 2 shown]
	s_and_saveexec_b64 s[16:17], s[4:5]
	s_cbranch_execz .LBB3_1010
; %bb.1003:
	v_mov_b32_e32 v6, 0
	global_load_dwordx2 v[13:14], v6, s[36:37] offset:32 glc
	global_load_dwordx2 v[2:3], v6, s[36:37] offset:40
	v_mov_b32_e32 v11, s10
	v_mov_b32_e32 v12, s11
	s_waitcnt vmcnt(0)
	v_readfirstlane_b32 s18, v2
	v_readfirstlane_b32 s19, v3
	s_and_b64 s[18:19], s[18:19], s[10:11]
	s_mul_i32 s15, s19, 24
	s_mul_hi_u32 s19, s18, 24
	s_mul_i32 s18, s18, 24
	s_add_i32 s15, s19, s15
	v_mov_b32_e32 v2, s15
	v_add_co_u32_e32 v4, vcc, s18, v0
	v_addc_co_u32_e32 v5, vcc, v1, v2, vcc
	global_store_dwordx2 v[4:5], v[13:14], off
	s_waitcnt vmcnt(0)
	global_atomic_cmpswap_x2 v[2:3], v6, v[11:14], s[36:37] offset:32 glc
	s_waitcnt vmcnt(0)
	v_cmp_ne_u64_e32 vcc, v[2:3], v[13:14]
	s_and_saveexec_b64 s[18:19], vcc
	s_cbranch_execz .LBB3_1006
; %bb.1004:
	s_mov_b64 s[20:21], 0
.LBB3_1005:                             ; =>This Inner Loop Header: Depth=1
	s_sleep 1
	global_store_dwordx2 v[4:5], v[2:3], off
	v_mov_b32_e32 v0, s10
	v_mov_b32_e32 v1, s11
	s_waitcnt vmcnt(0)
	global_atomic_cmpswap_x2 v[0:1], v6, v[0:3], s[36:37] offset:32 glc
	s_waitcnt vmcnt(0)
	v_cmp_eq_u64_e32 vcc, v[0:1], v[2:3]
	v_mov_b32_e32 v3, v1
	s_or_b64 s[20:21], vcc, s[20:21]
	v_mov_b32_e32 v2, v0
	s_andn2_b64 exec, exec, s[20:21]
	s_cbranch_execnz .LBB3_1005
.LBB3_1006:
	s_or_b64 exec, exec, s[18:19]
	v_mov_b32_e32 v3, 0
	global_load_dwordx2 v[0:1], v3, s[36:37] offset:16
	s_mov_b64 s[18:19], exec
	v_mbcnt_lo_u32_b32 v2, s18, 0
	v_mbcnt_hi_u32_b32 v2, s19, v2
	v_cmp_eq_u32_e32 vcc, 0, v2
	s_and_saveexec_b64 s[20:21], vcc
	s_cbranch_execz .LBB3_1008
; %bb.1007:
	s_bcnt1_i32_b64 s15, s[18:19]
	v_mov_b32_e32 v2, s15
	s_waitcnt vmcnt(0)
	global_atomic_add_x2 v[0:1], v[2:3], off offset:8
.LBB3_1008:
	s_or_b64 exec, exec, s[20:21]
	s_waitcnt vmcnt(0)
	global_load_dwordx2 v[2:3], v[0:1], off offset:16
	s_waitcnt vmcnt(0)
	v_cmp_eq_u64_e32 vcc, 0, v[2:3]
	s_cbranch_vccnz .LBB3_1010
; %bb.1009:
	global_load_dword v0, v[0:1], off offset:24
	v_mov_b32_e32 v1, 0
	s_waitcnt vmcnt(0)
	global_store_dwordx2 v[2:3], v[0:1], off
	v_and_b32_e32 v0, 0xffffff, v0
	v_readfirstlane_b32 m0, v0
	s_sendmsg sendmsg(MSG_INTERRUPT)
.LBB3_1010:
	s_or_b64 exec, exec, s[16:17]
	s_branch .LBB3_1014
.LBB3_1011:                             ;   in Loop: Header=BB3_1014 Depth=1
	s_or_b64 exec, exec, s[16:17]
	v_readfirstlane_b32 s15, v0
	s_cmp_eq_u32 s15, 0
	s_cbranch_scc1 .LBB3_1013
; %bb.1012:                             ;   in Loop: Header=BB3_1014 Depth=1
	s_sleep 1
	s_cbranch_execnz .LBB3_1014
	s_branch .LBB3_1016
.LBB3_1013:
	s_branch .LBB3_1016
.LBB3_1014:                             ; =>This Inner Loop Header: Depth=1
	v_mov_b32_e32 v0, 1
	s_and_saveexec_b64 s[16:17], s[4:5]
	s_cbranch_execz .LBB3_1011
; %bb.1015:                             ;   in Loop: Header=BB3_1014 Depth=1
	global_load_dword v0, v[7:8], off offset:20 glc
	s_waitcnt vmcnt(0)
	buffer_wbinvl1_vol
	v_and_b32_e32 v0, 1, v0
	s_branch .LBB3_1011
.LBB3_1016:
	global_load_dwordx2 v[0:1], v[9:10], off
	s_and_saveexec_b64 s[16:17], s[4:5]
	s_cbranch_execz .LBB3_1019
; %bb.1017:
	v_mov_b32_e32 v8, 0
	global_load_dwordx2 v[4:5], v8, s[36:37] offset:40
	global_load_dwordx2 v[9:10], v8, s[36:37] offset:24 glc
	global_load_dwordx2 v[6:7], v8, s[36:37]
	v_mov_b32_e32 v3, s11
	s_mov_b64 s[4:5], 0
	s_waitcnt vmcnt(2)
	v_add_co_u32_e32 v11, vcc, 1, v4
	v_addc_co_u32_e32 v12, vcc, 0, v5, vcc
	v_add_co_u32_e32 v2, vcc, s10, v11
	v_addc_co_u32_e32 v3, vcc, v12, v3, vcc
	v_cmp_eq_u64_e32 vcc, 0, v[2:3]
	v_cndmask_b32_e32 v3, v3, v12, vcc
	v_cndmask_b32_e32 v2, v2, v11, vcc
	v_and_b32_e32 v5, v3, v5
	v_and_b32_e32 v4, v2, v4
	v_mul_lo_u32 v5, v5, 24
	v_mul_hi_u32 v11, v4, 24
	v_mul_lo_u32 v12, v4, 24
	s_waitcnt vmcnt(1)
	v_mov_b32_e32 v4, v9
	v_add_u32_e32 v5, v11, v5
	s_waitcnt vmcnt(0)
	v_add_co_u32_e32 v6, vcc, v6, v12
	v_addc_co_u32_e32 v7, vcc, v7, v5, vcc
	global_store_dwordx2 v[6:7], v[9:10], off
	v_mov_b32_e32 v5, v10
	s_waitcnt vmcnt(0)
	global_atomic_cmpswap_x2 v[4:5], v8, v[2:5], s[36:37] offset:24 glc
	s_waitcnt vmcnt(0)
	v_cmp_ne_u64_e32 vcc, v[4:5], v[9:10]
	s_and_b64 exec, exec, vcc
	s_cbranch_execz .LBB3_1019
.LBB3_1018:                             ; =>This Inner Loop Header: Depth=1
	s_sleep 1
	global_store_dwordx2 v[6:7], v[4:5], off
	s_waitcnt vmcnt(0)
	global_atomic_cmpswap_x2 v[9:10], v8, v[2:5], s[36:37] offset:24 glc
	s_waitcnt vmcnt(0)
	v_cmp_eq_u64_e32 vcc, v[9:10], v[4:5]
	v_mov_b32_e32 v4, v9
	s_or_b64 s[4:5], vcc, s[4:5]
	v_mov_b32_e32 v5, v10
	s_andn2_b64 exec, exec, s[4:5]
	s_cbranch_execnz .LBB3_1018
.LBB3_1019:
	s_or_b64 exec, exec, s[16:17]
	s_and_b64 vcc, exec, s[40:41]
	s_cbranch_vccz .LBB3_1104
; %bb.1020:
	s_waitcnt vmcnt(0)
	v_and_b32_e32 v31, 2, v0
	v_mov_b32_e32 v28, 0
	v_and_b32_e32 v2, -3, v0
	v_mov_b32_e32 v3, v1
	s_mov_b64 s[16:17], 3
	v_mov_b32_e32 v6, 2
	v_mov_b32_e32 v7, 1
	s_getpc_b64 s[10:11]
	s_add_u32 s10, s10, .str.6@rel32@lo+4
	s_addc_u32 s11, s11, .str.6@rel32@hi+12
	s_branch .LBB3_1022
.LBB3_1021:                             ;   in Loop: Header=BB3_1022 Depth=1
	s_or_b64 exec, exec, s[22:23]
	s_sub_u32 s16, s16, s18
	s_subb_u32 s17, s17, s19
	s_add_u32 s10, s10, s18
	s_addc_u32 s11, s11, s19
	s_cmp_lg_u64 s[16:17], 0
	s_cbranch_scc0 .LBB3_1103
.LBB3_1022:                             ; =>This Loop Header: Depth=1
                                        ;     Child Loop BB3_1025 Depth 2
                                        ;     Child Loop BB3_1032 Depth 2
	;; [unrolled: 1-line block ×11, first 2 shown]
	v_cmp_lt_u64_e64 s[4:5], s[16:17], 56
	v_cmp_gt_u64_e64 s[20:21], s[16:17], 7
	s_and_b64 s[4:5], s[4:5], exec
	s_cselect_b32 s19, s17, 0
	s_cselect_b32 s18, s16, 56
	s_and_b64 vcc, exec, s[20:21]
	s_cbranch_vccnz .LBB3_1027
; %bb.1023:                             ;   in Loop: Header=BB3_1022 Depth=1
	v_mov_b32_e32 v10, 0
	s_cmp_eq_u64 s[16:17], 0
	v_mov_b32_e32 v11, 0
	s_mov_b64 s[4:5], 0
	s_cbranch_scc1 .LBB3_1026
; %bb.1024:                             ;   in Loop: Header=BB3_1022 Depth=1
	v_mov_b32_e32 v10, 0
	s_lshl_b64 s[20:21], s[18:19], 3
	s_mov_b64 s[22:23], 0
	v_mov_b32_e32 v11, 0
	s_mov_b64 s[24:25], s[10:11]
.LBB3_1025:                             ;   Parent Loop BB3_1022 Depth=1
                                        ; =>  This Inner Loop Header: Depth=2
	global_load_ubyte v4, v28, s[24:25]
	s_waitcnt vmcnt(0)
	v_and_b32_e32 v27, 0xffff, v4
	v_lshlrev_b64 v[4:5], s22, v[27:28]
	s_add_u32 s22, s22, 8
	s_addc_u32 s23, s23, 0
	s_add_u32 s24, s24, 1
	s_addc_u32 s25, s25, 0
	v_or_b32_e32 v10, v4, v10
	s_cmp_lg_u32 s20, s22
	v_or_b32_e32 v11, v5, v11
	s_cbranch_scc1 .LBB3_1025
.LBB3_1026:                             ;   in Loop: Header=BB3_1022 Depth=1
	s_mov_b32 s15, 0
	s_andn2_b64 vcc, exec, s[4:5]
	s_mov_b64 s[4:5], s[10:11]
	s_cbranch_vccz .LBB3_1028
	s_branch .LBB3_1029
.LBB3_1027:                             ;   in Loop: Header=BB3_1022 Depth=1
                                        ; implicit-def: $vgpr10_vgpr11
                                        ; implicit-def: $sgpr15
	s_mov_b64 s[4:5], s[10:11]
.LBB3_1028:                             ;   in Loop: Header=BB3_1022 Depth=1
	global_load_dwordx2 v[10:11], v28, s[10:11]
	s_add_i32 s15, s18, -8
	s_add_u32 s4, s10, 8
	s_addc_u32 s5, s11, 0
.LBB3_1029:                             ;   in Loop: Header=BB3_1022 Depth=1
	s_cmp_gt_u32 s15, 7
	s_cbranch_scc1 .LBB3_1033
; %bb.1030:                             ;   in Loop: Header=BB3_1022 Depth=1
	s_cmp_eq_u32 s15, 0
	s_cbranch_scc1 .LBB3_1034
; %bb.1031:                             ;   in Loop: Header=BB3_1022 Depth=1
	v_mov_b32_e32 v12, 0
	s_mov_b64 s[20:21], 0
	v_mov_b32_e32 v13, 0
	s_mov_b64 s[22:23], 0
.LBB3_1032:                             ;   Parent Loop BB3_1022 Depth=1
                                        ; =>  This Inner Loop Header: Depth=2
	s_add_u32 s24, s4, s22
	s_addc_u32 s25, s5, s23
	global_load_ubyte v4, v28, s[24:25]
	s_add_u32 s22, s22, 1
	s_addc_u32 s23, s23, 0
	s_waitcnt vmcnt(0)
	v_and_b32_e32 v27, 0xffff, v4
	v_lshlrev_b64 v[4:5], s20, v[27:28]
	s_add_u32 s20, s20, 8
	s_addc_u32 s21, s21, 0
	v_or_b32_e32 v12, v4, v12
	s_cmp_lg_u32 s15, s22
	v_or_b32_e32 v13, v5, v13
	s_cbranch_scc1 .LBB3_1032
	s_branch .LBB3_1035
.LBB3_1033:                             ;   in Loop: Header=BB3_1022 Depth=1
                                        ; implicit-def: $vgpr12_vgpr13
                                        ; implicit-def: $sgpr24
	s_branch .LBB3_1036
.LBB3_1034:                             ;   in Loop: Header=BB3_1022 Depth=1
	v_mov_b32_e32 v12, 0
	v_mov_b32_e32 v13, 0
.LBB3_1035:                             ;   in Loop: Header=BB3_1022 Depth=1
	s_mov_b32 s24, 0
	s_cbranch_execnz .LBB3_1037
.LBB3_1036:                             ;   in Loop: Header=BB3_1022 Depth=1
	global_load_dwordx2 v[12:13], v28, s[4:5]
	s_add_i32 s24, s15, -8
	s_add_u32 s4, s4, 8
	s_addc_u32 s5, s5, 0
.LBB3_1037:                             ;   in Loop: Header=BB3_1022 Depth=1
	s_cmp_gt_u32 s24, 7
	s_cbranch_scc1 .LBB3_1041
; %bb.1038:                             ;   in Loop: Header=BB3_1022 Depth=1
	s_cmp_eq_u32 s24, 0
	s_cbranch_scc1 .LBB3_1042
; %bb.1039:                             ;   in Loop: Header=BB3_1022 Depth=1
	v_mov_b32_e32 v14, 0
	s_mov_b64 s[20:21], 0
	v_mov_b32_e32 v15, 0
	s_mov_b64 s[22:23], 0
.LBB3_1040:                             ;   Parent Loop BB3_1022 Depth=1
                                        ; =>  This Inner Loop Header: Depth=2
	s_add_u32 s26, s4, s22
	s_addc_u32 s27, s5, s23
	global_load_ubyte v4, v28, s[26:27]
	s_add_u32 s22, s22, 1
	s_addc_u32 s23, s23, 0
	s_waitcnt vmcnt(0)
	v_and_b32_e32 v27, 0xffff, v4
	v_lshlrev_b64 v[4:5], s20, v[27:28]
	s_add_u32 s20, s20, 8
	s_addc_u32 s21, s21, 0
	v_or_b32_e32 v14, v4, v14
	s_cmp_lg_u32 s24, s22
	v_or_b32_e32 v15, v5, v15
	s_cbranch_scc1 .LBB3_1040
	s_branch .LBB3_1043
.LBB3_1041:                             ;   in Loop: Header=BB3_1022 Depth=1
                                        ; implicit-def: $sgpr15
	s_branch .LBB3_1044
.LBB3_1042:                             ;   in Loop: Header=BB3_1022 Depth=1
	v_mov_b32_e32 v14, 0
	v_mov_b32_e32 v15, 0
.LBB3_1043:                             ;   in Loop: Header=BB3_1022 Depth=1
	s_mov_b32 s15, 0
	s_cbranch_execnz .LBB3_1045
.LBB3_1044:                             ;   in Loop: Header=BB3_1022 Depth=1
	global_load_dwordx2 v[14:15], v28, s[4:5]
	s_add_i32 s15, s24, -8
	s_add_u32 s4, s4, 8
	s_addc_u32 s5, s5, 0
.LBB3_1045:                             ;   in Loop: Header=BB3_1022 Depth=1
	s_cmp_gt_u32 s15, 7
	s_cbranch_scc1 .LBB3_1049
; %bb.1046:                             ;   in Loop: Header=BB3_1022 Depth=1
	s_cmp_eq_u32 s15, 0
	s_cbranch_scc1 .LBB3_1050
; %bb.1047:                             ;   in Loop: Header=BB3_1022 Depth=1
	v_mov_b32_e32 v16, 0
	s_mov_b64 s[20:21], 0
	v_mov_b32_e32 v17, 0
	s_mov_b64 s[22:23], 0
.LBB3_1048:                             ;   Parent Loop BB3_1022 Depth=1
                                        ; =>  This Inner Loop Header: Depth=2
	s_add_u32 s24, s4, s22
	s_addc_u32 s25, s5, s23
	global_load_ubyte v4, v28, s[24:25]
	s_add_u32 s22, s22, 1
	s_addc_u32 s23, s23, 0
	s_waitcnt vmcnt(0)
	v_and_b32_e32 v27, 0xffff, v4
	v_lshlrev_b64 v[4:5], s20, v[27:28]
	s_add_u32 s20, s20, 8
	s_addc_u32 s21, s21, 0
	v_or_b32_e32 v16, v4, v16
	s_cmp_lg_u32 s15, s22
	v_or_b32_e32 v17, v5, v17
	s_cbranch_scc1 .LBB3_1048
	s_branch .LBB3_1051
.LBB3_1049:                             ;   in Loop: Header=BB3_1022 Depth=1
                                        ; implicit-def: $vgpr16_vgpr17
                                        ; implicit-def: $sgpr24
	s_branch .LBB3_1052
.LBB3_1050:                             ;   in Loop: Header=BB3_1022 Depth=1
	v_mov_b32_e32 v16, 0
	v_mov_b32_e32 v17, 0
.LBB3_1051:                             ;   in Loop: Header=BB3_1022 Depth=1
	s_mov_b32 s24, 0
	s_cbranch_execnz .LBB3_1053
.LBB3_1052:                             ;   in Loop: Header=BB3_1022 Depth=1
	global_load_dwordx2 v[16:17], v28, s[4:5]
	s_add_i32 s24, s15, -8
	s_add_u32 s4, s4, 8
	s_addc_u32 s5, s5, 0
.LBB3_1053:                             ;   in Loop: Header=BB3_1022 Depth=1
	s_cmp_gt_u32 s24, 7
	s_cbranch_scc1 .LBB3_1057
; %bb.1054:                             ;   in Loop: Header=BB3_1022 Depth=1
	s_cmp_eq_u32 s24, 0
	s_cbranch_scc1 .LBB3_1058
; %bb.1055:                             ;   in Loop: Header=BB3_1022 Depth=1
	v_mov_b32_e32 v18, 0
	s_mov_b64 s[20:21], 0
	v_mov_b32_e32 v19, 0
	s_mov_b64 s[22:23], 0
.LBB3_1056:                             ;   Parent Loop BB3_1022 Depth=1
                                        ; =>  This Inner Loop Header: Depth=2
	s_add_u32 s26, s4, s22
	s_addc_u32 s27, s5, s23
	global_load_ubyte v4, v28, s[26:27]
	s_add_u32 s22, s22, 1
	s_addc_u32 s23, s23, 0
	s_waitcnt vmcnt(0)
	v_and_b32_e32 v27, 0xffff, v4
	v_lshlrev_b64 v[4:5], s20, v[27:28]
	s_add_u32 s20, s20, 8
	s_addc_u32 s21, s21, 0
	v_or_b32_e32 v18, v4, v18
	s_cmp_lg_u32 s24, s22
	v_or_b32_e32 v19, v5, v19
	s_cbranch_scc1 .LBB3_1056
	s_branch .LBB3_1059
.LBB3_1057:                             ;   in Loop: Header=BB3_1022 Depth=1
                                        ; implicit-def: $sgpr15
	s_branch .LBB3_1060
.LBB3_1058:                             ;   in Loop: Header=BB3_1022 Depth=1
	v_mov_b32_e32 v18, 0
	v_mov_b32_e32 v19, 0
.LBB3_1059:                             ;   in Loop: Header=BB3_1022 Depth=1
	s_mov_b32 s15, 0
	s_cbranch_execnz .LBB3_1061
.LBB3_1060:                             ;   in Loop: Header=BB3_1022 Depth=1
	global_load_dwordx2 v[18:19], v28, s[4:5]
	s_add_i32 s15, s24, -8
	s_add_u32 s4, s4, 8
	s_addc_u32 s5, s5, 0
.LBB3_1061:                             ;   in Loop: Header=BB3_1022 Depth=1
	s_cmp_gt_u32 s15, 7
	s_cbranch_scc1 .LBB3_1065
; %bb.1062:                             ;   in Loop: Header=BB3_1022 Depth=1
	s_cmp_eq_u32 s15, 0
	s_cbranch_scc1 .LBB3_1066
; %bb.1063:                             ;   in Loop: Header=BB3_1022 Depth=1
	v_mov_b32_e32 v20, 0
	s_mov_b64 s[20:21], 0
	v_mov_b32_e32 v21, 0
	s_mov_b64 s[22:23], 0
.LBB3_1064:                             ;   Parent Loop BB3_1022 Depth=1
                                        ; =>  This Inner Loop Header: Depth=2
	s_add_u32 s24, s4, s22
	s_addc_u32 s25, s5, s23
	global_load_ubyte v4, v28, s[24:25]
	s_add_u32 s22, s22, 1
	s_addc_u32 s23, s23, 0
	s_waitcnt vmcnt(0)
	v_and_b32_e32 v27, 0xffff, v4
	v_lshlrev_b64 v[4:5], s20, v[27:28]
	s_add_u32 s20, s20, 8
	s_addc_u32 s21, s21, 0
	v_or_b32_e32 v20, v4, v20
	s_cmp_lg_u32 s15, s22
	v_or_b32_e32 v21, v5, v21
	s_cbranch_scc1 .LBB3_1064
	s_branch .LBB3_1067
.LBB3_1065:                             ;   in Loop: Header=BB3_1022 Depth=1
                                        ; implicit-def: $vgpr20_vgpr21
                                        ; implicit-def: $sgpr24
	s_branch .LBB3_1068
.LBB3_1066:                             ;   in Loop: Header=BB3_1022 Depth=1
	v_mov_b32_e32 v20, 0
	v_mov_b32_e32 v21, 0
.LBB3_1067:                             ;   in Loop: Header=BB3_1022 Depth=1
	s_mov_b32 s24, 0
	s_cbranch_execnz .LBB3_1069
.LBB3_1068:                             ;   in Loop: Header=BB3_1022 Depth=1
	global_load_dwordx2 v[20:21], v28, s[4:5]
	s_add_i32 s24, s15, -8
	s_add_u32 s4, s4, 8
	s_addc_u32 s5, s5, 0
.LBB3_1069:                             ;   in Loop: Header=BB3_1022 Depth=1
	s_cmp_gt_u32 s24, 7
	s_cbranch_scc1 .LBB3_1073
; %bb.1070:                             ;   in Loop: Header=BB3_1022 Depth=1
	s_cmp_eq_u32 s24, 0
	s_cbranch_scc1 .LBB3_1074
; %bb.1071:                             ;   in Loop: Header=BB3_1022 Depth=1
	v_mov_b32_e32 v22, 0
	s_mov_b64 s[20:21], 0
	v_mov_b32_e32 v23, 0
	s_mov_b64 s[22:23], s[4:5]
.LBB3_1072:                             ;   Parent Loop BB3_1022 Depth=1
                                        ; =>  This Inner Loop Header: Depth=2
	global_load_ubyte v4, v28, s[22:23]
	s_add_i32 s24, s24, -1
	s_waitcnt vmcnt(0)
	v_and_b32_e32 v27, 0xffff, v4
	v_lshlrev_b64 v[4:5], s20, v[27:28]
	s_add_u32 s20, s20, 8
	s_addc_u32 s21, s21, 0
	s_add_u32 s22, s22, 1
	s_addc_u32 s23, s23, 0
	v_or_b32_e32 v22, v4, v22
	s_cmp_lg_u32 s24, 0
	v_or_b32_e32 v23, v5, v23
	s_cbranch_scc1 .LBB3_1072
	s_branch .LBB3_1075
.LBB3_1073:                             ;   in Loop: Header=BB3_1022 Depth=1
	s_branch .LBB3_1076
.LBB3_1074:                             ;   in Loop: Header=BB3_1022 Depth=1
	v_mov_b32_e32 v22, 0
	v_mov_b32_e32 v23, 0
.LBB3_1075:                             ;   in Loop: Header=BB3_1022 Depth=1
	s_cbranch_execnz .LBB3_1077
.LBB3_1076:                             ;   in Loop: Header=BB3_1022 Depth=1
	global_load_dwordx2 v[22:23], v28, s[4:5]
.LBB3_1077:                             ;   in Loop: Header=BB3_1022 Depth=1
	v_readfirstlane_b32 s4, v50
	s_waitcnt vmcnt(0)
	v_mov_b32_e32 v4, 0
	v_mov_b32_e32 v5, 0
	v_cmp_eq_u32_e64 s[4:5], s4, v50
	s_and_saveexec_b64 s[20:21], s[4:5]
	s_cbranch_execz .LBB3_1083
; %bb.1078:                             ;   in Loop: Header=BB3_1022 Depth=1
	global_load_dwordx2 v[26:27], v28, s[36:37] offset:24 glc
	s_waitcnt vmcnt(0)
	buffer_wbinvl1_vol
	global_load_dwordx2 v[4:5], v28, s[36:37] offset:40
	global_load_dwordx2 v[8:9], v28, s[36:37]
	s_waitcnt vmcnt(1)
	v_and_b32_e32 v4, v4, v26
	v_and_b32_e32 v5, v5, v27
	v_mul_lo_u32 v5, v5, 24
	v_mul_hi_u32 v24, v4, 24
	v_mul_lo_u32 v4, v4, 24
	v_add_u32_e32 v5, v24, v5
	s_waitcnt vmcnt(0)
	v_add_co_u32_e32 v4, vcc, v8, v4
	v_addc_co_u32_e32 v5, vcc, v9, v5, vcc
	global_load_dwordx2 v[24:25], v[4:5], off glc
	s_waitcnt vmcnt(0)
	global_atomic_cmpswap_x2 v[4:5], v28, v[24:27], s[36:37] offset:24 glc
	s_waitcnt vmcnt(0)
	buffer_wbinvl1_vol
	v_cmp_ne_u64_e32 vcc, v[4:5], v[26:27]
	s_and_saveexec_b64 s[22:23], vcc
	s_cbranch_execz .LBB3_1082
; %bb.1079:                             ;   in Loop: Header=BB3_1022 Depth=1
	s_mov_b64 s[24:25], 0
.LBB3_1080:                             ;   Parent Loop BB3_1022 Depth=1
                                        ; =>  This Inner Loop Header: Depth=2
	s_sleep 1
	global_load_dwordx2 v[8:9], v28, s[36:37] offset:40
	global_load_dwordx2 v[24:25], v28, s[36:37]
	v_mov_b32_e32 v27, v5
	v_mov_b32_e32 v26, v4
	s_waitcnt vmcnt(1)
	v_and_b32_e32 v4, v8, v26
	s_waitcnt vmcnt(0)
	v_mad_u64_u32 v[4:5], s[26:27], v4, 24, v[24:25]
	v_and_b32_e32 v8, v9, v27
	v_mad_u64_u32 v[8:9], s[26:27], v8, 24, v[5:6]
	v_mov_b32_e32 v5, v8
	global_load_dwordx2 v[24:25], v[4:5], off glc
	s_waitcnt vmcnt(0)
	global_atomic_cmpswap_x2 v[4:5], v28, v[24:27], s[36:37] offset:24 glc
	s_waitcnt vmcnt(0)
	buffer_wbinvl1_vol
	v_cmp_eq_u64_e32 vcc, v[4:5], v[26:27]
	s_or_b64 s[24:25], vcc, s[24:25]
	s_andn2_b64 exec, exec, s[24:25]
	s_cbranch_execnz .LBB3_1080
; %bb.1081:                             ;   in Loop: Header=BB3_1022 Depth=1
	s_or_b64 exec, exec, s[24:25]
.LBB3_1082:                             ;   in Loop: Header=BB3_1022 Depth=1
	s_or_b64 exec, exec, s[22:23]
.LBB3_1083:                             ;   in Loop: Header=BB3_1022 Depth=1
	s_or_b64 exec, exec, s[20:21]
	global_load_dwordx2 v[8:9], v28, s[36:37] offset:40
	global_load_dwordx4 v[24:27], v28, s[36:37]
	v_readfirstlane_b32 s20, v4
	v_readfirstlane_b32 s21, v5
	s_mov_b64 s[22:23], exec
	s_waitcnt vmcnt(1)
	v_readfirstlane_b32 s24, v8
	v_readfirstlane_b32 s25, v9
	s_and_b64 s[24:25], s[20:21], s[24:25]
	s_mul_i32 s15, s25, 24
	s_mul_hi_u32 s26, s24, 24
	s_mul_i32 s27, s24, 24
	s_add_i32 s15, s26, s15
	v_mov_b32_e32 v4, s15
	s_waitcnt vmcnt(0)
	v_add_co_u32_e32 v29, vcc, s27, v24
	v_addc_co_u32_e32 v30, vcc, v25, v4, vcc
	s_and_saveexec_b64 s[26:27], s[4:5]
	s_cbranch_execz .LBB3_1085
; %bb.1084:                             ;   in Loop: Header=BB3_1022 Depth=1
	v_mov_b32_e32 v4, s22
	v_mov_b32_e32 v5, s23
	global_store_dwordx4 v[29:30], v[4:7], off offset:8
.LBB3_1085:                             ;   in Loop: Header=BB3_1022 Depth=1
	s_or_b64 exec, exec, s[26:27]
	s_lshl_b64 s[22:23], s[24:25], 12
	v_mov_b32_e32 v4, s23
	v_add_co_u32_e32 v26, vcc, s22, v26
	v_addc_co_u32_e32 v32, vcc, v27, v4, vcc
	v_cmp_gt_u64_e64 vcc, s[16:17], 56
	v_or_b32_e32 v5, v2, v31
	s_lshl_b32 s15, s18, 2
	v_cndmask_b32_e32 v2, v5, v2, vcc
	s_add_i32 s15, s15, 28
	v_or_b32_e32 v4, 0, v3
	s_and_b32 s15, s15, 0x1e0
	v_and_b32_e32 v2, 0xffffff1f, v2
	v_cndmask_b32_e32 v9, v4, v3, vcc
	v_or_b32_e32 v8, s15, v2
	v_readfirstlane_b32 s22, v26
	v_readfirstlane_b32 s23, v32
	s_nop 4
	global_store_dwordx4 v39, v[8:11], s[22:23]
	global_store_dwordx4 v39, v[12:15], s[22:23] offset:16
	global_store_dwordx4 v39, v[16:19], s[22:23] offset:32
	;; [unrolled: 1-line block ×3, first 2 shown]
	s_and_saveexec_b64 s[22:23], s[4:5]
	s_cbranch_execz .LBB3_1093
; %bb.1086:                             ;   in Loop: Header=BB3_1022 Depth=1
	global_load_dwordx2 v[12:13], v28, s[36:37] offset:32 glc
	global_load_dwordx2 v[2:3], v28, s[36:37] offset:40
	v_mov_b32_e32 v10, s20
	v_mov_b32_e32 v11, s21
	s_waitcnt vmcnt(0)
	v_readfirstlane_b32 s24, v2
	v_readfirstlane_b32 s25, v3
	s_and_b64 s[24:25], s[24:25], s[20:21]
	s_mul_i32 s15, s25, 24
	s_mul_hi_u32 s25, s24, 24
	s_mul_i32 s24, s24, 24
	s_add_i32 s15, s25, s15
	v_mov_b32_e32 v2, s15
	v_add_co_u32_e32 v8, vcc, s24, v24
	v_addc_co_u32_e32 v9, vcc, v25, v2, vcc
	global_store_dwordx2 v[8:9], v[12:13], off
	s_waitcnt vmcnt(0)
	global_atomic_cmpswap_x2 v[4:5], v28, v[10:13], s[36:37] offset:32 glc
	s_waitcnt vmcnt(0)
	v_cmp_ne_u64_e32 vcc, v[4:5], v[12:13]
	s_and_saveexec_b64 s[24:25], vcc
	s_cbranch_execz .LBB3_1089
; %bb.1087:                             ;   in Loop: Header=BB3_1022 Depth=1
	s_mov_b64 s[26:27], 0
.LBB3_1088:                             ;   Parent Loop BB3_1022 Depth=1
                                        ; =>  This Inner Loop Header: Depth=2
	s_sleep 1
	global_store_dwordx2 v[8:9], v[4:5], off
	v_mov_b32_e32 v2, s20
	v_mov_b32_e32 v3, s21
	s_waitcnt vmcnt(0)
	global_atomic_cmpswap_x2 v[2:3], v28, v[2:5], s[36:37] offset:32 glc
	s_waitcnt vmcnt(0)
	v_cmp_eq_u64_e32 vcc, v[2:3], v[4:5]
	v_mov_b32_e32 v5, v3
	s_or_b64 s[26:27], vcc, s[26:27]
	v_mov_b32_e32 v4, v2
	s_andn2_b64 exec, exec, s[26:27]
	s_cbranch_execnz .LBB3_1088
.LBB3_1089:                             ;   in Loop: Header=BB3_1022 Depth=1
	s_or_b64 exec, exec, s[24:25]
	global_load_dwordx2 v[2:3], v28, s[36:37] offset:16
	s_mov_b64 s[26:27], exec
	v_mbcnt_lo_u32_b32 v4, s26, 0
	v_mbcnt_hi_u32_b32 v4, s27, v4
	v_cmp_eq_u32_e32 vcc, 0, v4
	s_and_saveexec_b64 s[24:25], vcc
	s_cbranch_execz .LBB3_1091
; %bb.1090:                             ;   in Loop: Header=BB3_1022 Depth=1
	s_bcnt1_i32_b64 s15, s[26:27]
	v_mov_b32_e32 v27, s15
	s_waitcnt vmcnt(0)
	global_atomic_add_x2 v[2:3], v[27:28], off offset:8
.LBB3_1091:                             ;   in Loop: Header=BB3_1022 Depth=1
	s_or_b64 exec, exec, s[24:25]
	s_waitcnt vmcnt(0)
	global_load_dwordx2 v[4:5], v[2:3], off offset:16
	s_waitcnt vmcnt(0)
	v_cmp_eq_u64_e32 vcc, 0, v[4:5]
	s_cbranch_vccnz .LBB3_1093
; %bb.1092:                             ;   in Loop: Header=BB3_1022 Depth=1
	global_load_dword v27, v[2:3], off offset:24
	s_waitcnt vmcnt(0)
	v_and_b32_e32 v2, 0xffffff, v27
	v_readfirstlane_b32 m0, v2
	global_store_dwordx2 v[4:5], v[27:28], off
	s_sendmsg sendmsg(MSG_INTERRUPT)
.LBB3_1093:                             ;   in Loop: Header=BB3_1022 Depth=1
	s_or_b64 exec, exec, s[22:23]
	v_add_co_u32_e32 v2, vcc, v26, v39
	v_addc_co_u32_e32 v3, vcc, 0, v32, vcc
	s_branch .LBB3_1097
.LBB3_1094:                             ;   in Loop: Header=BB3_1097 Depth=2
	s_or_b64 exec, exec, s[22:23]
	v_readfirstlane_b32 s15, v4
	s_cmp_eq_u32 s15, 0
	s_cbranch_scc1 .LBB3_1096
; %bb.1095:                             ;   in Loop: Header=BB3_1097 Depth=2
	s_sleep 1
	s_cbranch_execnz .LBB3_1097
	s_branch .LBB3_1099
.LBB3_1096:                             ;   in Loop: Header=BB3_1022 Depth=1
	s_branch .LBB3_1099
.LBB3_1097:                             ;   Parent Loop BB3_1022 Depth=1
                                        ; =>  This Inner Loop Header: Depth=2
	v_mov_b32_e32 v4, 1
	s_and_saveexec_b64 s[22:23], s[4:5]
	s_cbranch_execz .LBB3_1094
; %bb.1098:                             ;   in Loop: Header=BB3_1097 Depth=2
	global_load_dword v4, v[29:30], off offset:20 glc
	s_waitcnt vmcnt(0)
	buffer_wbinvl1_vol
	v_and_b32_e32 v4, 1, v4
	s_branch .LBB3_1094
.LBB3_1099:                             ;   in Loop: Header=BB3_1022 Depth=1
	global_load_dwordx4 v[2:5], v[2:3], off
	s_and_saveexec_b64 s[22:23], s[4:5]
	s_cbranch_execz .LBB3_1021
; %bb.1100:                             ;   in Loop: Header=BB3_1022 Depth=1
	global_load_dwordx2 v[4:5], v28, s[36:37] offset:40
	global_load_dwordx2 v[12:13], v28, s[36:37] offset:24 glc
	global_load_dwordx2 v[14:15], v28, s[36:37]
	v_mov_b32_e32 v9, s21
	s_waitcnt vmcnt(2)
	v_add_co_u32_e32 v10, vcc, 1, v4
	v_addc_co_u32_e32 v11, vcc, 0, v5, vcc
	v_add_co_u32_e32 v8, vcc, s20, v10
	v_addc_co_u32_e32 v9, vcc, v11, v9, vcc
	v_cmp_eq_u64_e32 vcc, 0, v[8:9]
	v_cndmask_b32_e32 v9, v9, v11, vcc
	v_cndmask_b32_e32 v8, v8, v10, vcc
	v_and_b32_e32 v5, v9, v5
	v_and_b32_e32 v4, v8, v4
	v_mul_lo_u32 v5, v5, 24
	v_mul_hi_u32 v11, v4, 24
	v_mul_lo_u32 v4, v4, 24
	s_waitcnt vmcnt(1)
	v_mov_b32_e32 v10, v12
	v_add_u32_e32 v5, v11, v5
	s_waitcnt vmcnt(0)
	v_add_co_u32_e32 v4, vcc, v14, v4
	v_addc_co_u32_e32 v5, vcc, v15, v5, vcc
	global_store_dwordx2 v[4:5], v[12:13], off
	v_mov_b32_e32 v11, v13
	s_waitcnt vmcnt(0)
	global_atomic_cmpswap_x2 v[10:11], v28, v[8:11], s[36:37] offset:24 glc
	s_waitcnt vmcnt(0)
	v_cmp_ne_u64_e32 vcc, v[10:11], v[12:13]
	s_and_b64 exec, exec, vcc
	s_cbranch_execz .LBB3_1021
; %bb.1101:                             ;   in Loop: Header=BB3_1022 Depth=1
	s_mov_b64 s[4:5], 0
.LBB3_1102:                             ;   Parent Loop BB3_1022 Depth=1
                                        ; =>  This Inner Loop Header: Depth=2
	s_sleep 1
	global_store_dwordx2 v[4:5], v[10:11], off
	s_waitcnt vmcnt(0)
	global_atomic_cmpswap_x2 v[12:13], v28, v[8:11], s[36:37] offset:24 glc
	s_waitcnt vmcnt(0)
	v_cmp_eq_u64_e32 vcc, v[12:13], v[10:11]
	v_mov_b32_e32 v10, v12
	s_or_b64 s[4:5], vcc, s[4:5]
	v_mov_b32_e32 v11, v13
	s_andn2_b64 exec, exec, s[4:5]
	s_cbranch_execnz .LBB3_1102
	s_branch .LBB3_1021
.LBB3_1103:
	s_branch .LBB3_1131
.LBB3_1104:
                                        ; implicit-def: $vgpr2_vgpr3
	s_cbranch_execz .LBB3_1131
; %bb.1105:
	v_readfirstlane_b32 s4, v50
	v_mov_b32_e32 v8, 0
	v_mov_b32_e32 v9, 0
	v_cmp_eq_u32_e64 s[4:5], s4, v50
	s_and_saveexec_b64 s[10:11], s[4:5]
	s_cbranch_execz .LBB3_1111
; %bb.1106:
	s_waitcnt vmcnt(0)
	v_mov_b32_e32 v2, 0
	global_load_dwordx2 v[5:6], v2, s[36:37] offset:24 glc
	s_waitcnt vmcnt(0)
	buffer_wbinvl1_vol
	global_load_dwordx2 v[3:4], v2, s[36:37] offset:40
	global_load_dwordx2 v[7:8], v2, s[36:37]
	s_waitcnt vmcnt(1)
	v_and_b32_e32 v3, v3, v5
	v_and_b32_e32 v4, v4, v6
	v_mul_lo_u32 v4, v4, 24
	v_mul_hi_u32 v9, v3, 24
	v_mul_lo_u32 v3, v3, 24
	v_add_u32_e32 v4, v9, v4
	s_waitcnt vmcnt(0)
	v_add_co_u32_e32 v3, vcc, v7, v3
	v_addc_co_u32_e32 v4, vcc, v8, v4, vcc
	global_load_dwordx2 v[3:4], v[3:4], off glc
	s_waitcnt vmcnt(0)
	global_atomic_cmpswap_x2 v[8:9], v2, v[3:6], s[36:37] offset:24 glc
	s_waitcnt vmcnt(0)
	buffer_wbinvl1_vol
	v_cmp_ne_u64_e32 vcc, v[8:9], v[5:6]
	s_and_saveexec_b64 s[16:17], vcc
	s_cbranch_execz .LBB3_1110
; %bb.1107:
	s_mov_b64 s[18:19], 0
.LBB3_1108:                             ; =>This Inner Loop Header: Depth=1
	s_sleep 1
	global_load_dwordx2 v[3:4], v2, s[36:37] offset:40
	global_load_dwordx2 v[10:11], v2, s[36:37]
	v_mov_b32_e32 v5, v8
	v_mov_b32_e32 v6, v9
	s_waitcnt vmcnt(1)
	v_and_b32_e32 v3, v3, v5
	s_waitcnt vmcnt(0)
	v_mad_u64_u32 v[7:8], s[20:21], v3, 24, v[10:11]
	v_and_b32_e32 v4, v4, v6
	v_mov_b32_e32 v3, v8
	v_mad_u64_u32 v[3:4], s[20:21], v4, 24, v[3:4]
	v_mov_b32_e32 v8, v3
	global_load_dwordx2 v[3:4], v[7:8], off glc
	s_waitcnt vmcnt(0)
	global_atomic_cmpswap_x2 v[8:9], v2, v[3:6], s[36:37] offset:24 glc
	s_waitcnt vmcnt(0)
	buffer_wbinvl1_vol
	v_cmp_eq_u64_e32 vcc, v[8:9], v[5:6]
	s_or_b64 s[18:19], vcc, s[18:19]
	s_andn2_b64 exec, exec, s[18:19]
	s_cbranch_execnz .LBB3_1108
; %bb.1109:
	s_or_b64 exec, exec, s[18:19]
.LBB3_1110:
	s_or_b64 exec, exec, s[16:17]
.LBB3_1111:
	s_or_b64 exec, exec, s[10:11]
	s_waitcnt vmcnt(0)
	v_mov_b32_e32 v2, 0
	global_load_dwordx2 v[10:11], v2, s[36:37] offset:40
	global_load_dwordx4 v[4:7], v2, s[36:37]
	v_readfirstlane_b32 s10, v8
	v_readfirstlane_b32 s11, v9
	s_mov_b64 s[16:17], exec
	s_waitcnt vmcnt(1)
	v_readfirstlane_b32 s18, v10
	v_readfirstlane_b32 s19, v11
	s_and_b64 s[18:19], s[10:11], s[18:19]
	s_mul_i32 s15, s19, 24
	s_mul_hi_u32 s20, s18, 24
	s_mul_i32 s21, s18, 24
	s_add_i32 s15, s20, s15
	v_mov_b32_e32 v3, s15
	s_waitcnt vmcnt(0)
	v_add_co_u32_e32 v8, vcc, s21, v4
	v_addc_co_u32_e32 v9, vcc, v5, v3, vcc
	s_and_saveexec_b64 s[20:21], s[4:5]
	s_cbranch_execz .LBB3_1113
; %bb.1112:
	v_mov_b32_e32 v10, s16
	v_mov_b32_e32 v11, s17
	;; [unrolled: 1-line block ×4, first 2 shown]
	global_store_dwordx4 v[8:9], v[10:13], off offset:8
.LBB3_1113:
	s_or_b64 exec, exec, s[20:21]
	s_lshl_b64 s[16:17], s[18:19], 12
	v_mov_b32_e32 v3, s17
	v_add_co_u32_e32 v10, vcc, s16, v6
	v_addc_co_u32_e32 v11, vcc, v7, v3, vcc
	s_movk_i32 s15, 0xff1f
	v_and_or_b32 v0, v0, s15, 32
	s_mov_b32 s16, 0
	v_mov_b32_e32 v3, v2
	v_readfirstlane_b32 s20, v10
	v_readfirstlane_b32 s21, v11
	v_add_co_u32_e32 v6, vcc, v10, v39
	s_mov_b32 s17, s16
	s_mov_b32 s18, s16
	;; [unrolled: 1-line block ×3, first 2 shown]
	s_nop 0
	global_store_dwordx4 v39, v[0:3], s[20:21]
	v_addc_co_u32_e32 v7, vcc, 0, v11, vcc
	v_mov_b32_e32 v0, s16
	v_mov_b32_e32 v1, s17
	v_mov_b32_e32 v2, s18
	v_mov_b32_e32 v3, s19
	global_store_dwordx4 v39, v[0:3], s[20:21] offset:16
	global_store_dwordx4 v39, v[0:3], s[20:21] offset:32
	;; [unrolled: 1-line block ×3, first 2 shown]
	s_and_saveexec_b64 s[16:17], s[4:5]
	s_cbranch_execz .LBB3_1121
; %bb.1114:
	v_mov_b32_e32 v10, 0
	global_load_dwordx2 v[13:14], v10, s[36:37] offset:32 glc
	global_load_dwordx2 v[0:1], v10, s[36:37] offset:40
	v_mov_b32_e32 v11, s10
	v_mov_b32_e32 v12, s11
	s_waitcnt vmcnt(0)
	v_readfirstlane_b32 s18, v0
	v_readfirstlane_b32 s19, v1
	s_and_b64 s[18:19], s[18:19], s[10:11]
	s_mul_i32 s15, s19, 24
	s_mul_hi_u32 s19, s18, 24
	s_mul_i32 s18, s18, 24
	s_add_i32 s15, s19, s15
	v_mov_b32_e32 v0, s15
	v_add_co_u32_e32 v4, vcc, s18, v4
	v_addc_co_u32_e32 v5, vcc, v5, v0, vcc
	global_store_dwordx2 v[4:5], v[13:14], off
	s_waitcnt vmcnt(0)
	global_atomic_cmpswap_x2 v[2:3], v10, v[11:14], s[36:37] offset:32 glc
	s_waitcnt vmcnt(0)
	v_cmp_ne_u64_e32 vcc, v[2:3], v[13:14]
	s_and_saveexec_b64 s[18:19], vcc
	s_cbranch_execz .LBB3_1117
; %bb.1115:
	s_mov_b64 s[20:21], 0
.LBB3_1116:                             ; =>This Inner Loop Header: Depth=1
	s_sleep 1
	global_store_dwordx2 v[4:5], v[2:3], off
	v_mov_b32_e32 v0, s10
	v_mov_b32_e32 v1, s11
	s_waitcnt vmcnt(0)
	global_atomic_cmpswap_x2 v[0:1], v10, v[0:3], s[36:37] offset:32 glc
	s_waitcnt vmcnt(0)
	v_cmp_eq_u64_e32 vcc, v[0:1], v[2:3]
	v_mov_b32_e32 v3, v1
	s_or_b64 s[20:21], vcc, s[20:21]
	v_mov_b32_e32 v2, v0
	s_andn2_b64 exec, exec, s[20:21]
	s_cbranch_execnz .LBB3_1116
.LBB3_1117:
	s_or_b64 exec, exec, s[18:19]
	v_mov_b32_e32 v3, 0
	global_load_dwordx2 v[0:1], v3, s[36:37] offset:16
	s_mov_b64 s[18:19], exec
	v_mbcnt_lo_u32_b32 v2, s18, 0
	v_mbcnt_hi_u32_b32 v2, s19, v2
	v_cmp_eq_u32_e32 vcc, 0, v2
	s_and_saveexec_b64 s[20:21], vcc
	s_cbranch_execz .LBB3_1119
; %bb.1118:
	s_bcnt1_i32_b64 s15, s[18:19]
	v_mov_b32_e32 v2, s15
	s_waitcnt vmcnt(0)
	global_atomic_add_x2 v[0:1], v[2:3], off offset:8
.LBB3_1119:
	s_or_b64 exec, exec, s[20:21]
	s_waitcnt vmcnt(0)
	global_load_dwordx2 v[2:3], v[0:1], off offset:16
	s_waitcnt vmcnt(0)
	v_cmp_eq_u64_e32 vcc, 0, v[2:3]
	s_cbranch_vccnz .LBB3_1121
; %bb.1120:
	global_load_dword v0, v[0:1], off offset:24
	v_mov_b32_e32 v1, 0
	s_waitcnt vmcnt(0)
	global_store_dwordx2 v[2:3], v[0:1], off
	v_and_b32_e32 v0, 0xffffff, v0
	v_readfirstlane_b32 m0, v0
	s_sendmsg sendmsg(MSG_INTERRUPT)
.LBB3_1121:
	s_or_b64 exec, exec, s[16:17]
	s_branch .LBB3_1125
.LBB3_1122:                             ;   in Loop: Header=BB3_1125 Depth=1
	s_or_b64 exec, exec, s[16:17]
	v_readfirstlane_b32 s15, v0
	s_cmp_eq_u32 s15, 0
	s_cbranch_scc1 .LBB3_1124
; %bb.1123:                             ;   in Loop: Header=BB3_1125 Depth=1
	s_sleep 1
	s_cbranch_execnz .LBB3_1125
	s_branch .LBB3_1127
.LBB3_1124:
	s_branch .LBB3_1127
.LBB3_1125:                             ; =>This Inner Loop Header: Depth=1
	v_mov_b32_e32 v0, 1
	s_and_saveexec_b64 s[16:17], s[4:5]
	s_cbranch_execz .LBB3_1122
; %bb.1126:                             ;   in Loop: Header=BB3_1125 Depth=1
	global_load_dword v0, v[8:9], off offset:20 glc
	s_waitcnt vmcnt(0)
	buffer_wbinvl1_vol
	v_and_b32_e32 v0, 1, v0
	s_branch .LBB3_1122
.LBB3_1127:
	global_load_dwordx2 v[2:3], v[6:7], off
	s_and_saveexec_b64 s[16:17], s[4:5]
	s_cbranch_execz .LBB3_1130
; %bb.1128:
	v_mov_b32_e32 v8, 0
	global_load_dwordx2 v[0:1], v8, s[36:37] offset:40
	global_load_dwordx2 v[9:10], v8, s[36:37] offset:24 glc
	global_load_dwordx2 v[11:12], v8, s[36:37]
	v_mov_b32_e32 v5, s11
	s_mov_b64 s[4:5], 0
	s_waitcnt vmcnt(2)
	v_add_co_u32_e32 v6, vcc, 1, v0
	v_addc_co_u32_e32 v7, vcc, 0, v1, vcc
	v_add_co_u32_e32 v4, vcc, s10, v6
	v_addc_co_u32_e32 v5, vcc, v7, v5, vcc
	v_cmp_eq_u64_e32 vcc, 0, v[4:5]
	v_cndmask_b32_e32 v5, v5, v7, vcc
	v_cndmask_b32_e32 v4, v4, v6, vcc
	v_and_b32_e32 v1, v5, v1
	v_and_b32_e32 v0, v4, v0
	v_mul_lo_u32 v1, v1, 24
	v_mul_hi_u32 v7, v0, 24
	v_mul_lo_u32 v0, v0, 24
	s_waitcnt vmcnt(1)
	v_mov_b32_e32 v6, v9
	v_add_u32_e32 v1, v7, v1
	s_waitcnt vmcnt(0)
	v_add_co_u32_e32 v0, vcc, v11, v0
	v_addc_co_u32_e32 v1, vcc, v12, v1, vcc
	global_store_dwordx2 v[0:1], v[9:10], off
	v_mov_b32_e32 v7, v10
	s_waitcnt vmcnt(0)
	global_atomic_cmpswap_x2 v[6:7], v8, v[4:7], s[36:37] offset:24 glc
	s_waitcnt vmcnt(0)
	v_cmp_ne_u64_e32 vcc, v[6:7], v[9:10]
	s_and_b64 exec, exec, vcc
	s_cbranch_execz .LBB3_1130
.LBB3_1129:                             ; =>This Inner Loop Header: Depth=1
	s_sleep 1
	global_store_dwordx2 v[0:1], v[6:7], off
	s_waitcnt vmcnt(0)
	global_atomic_cmpswap_x2 v[9:10], v8, v[4:7], s[36:37] offset:24 glc
	s_waitcnt vmcnt(0)
	v_cmp_eq_u64_e32 vcc, v[9:10], v[6:7]
	v_mov_b32_e32 v6, v9
	s_or_b64 s[4:5], vcc, s[4:5]
	v_mov_b32_e32 v7, v10
	s_andn2_b64 exec, exec, s[4:5]
	s_cbranch_execnz .LBB3_1129
.LBB3_1130:
	s_or_b64 exec, exec, s[16:17]
.LBB3_1131:
	v_readfirstlane_b32 s4, v50
	s_waitcnt vmcnt(0)
	v_mov_b32_e32 v0, 0
	v_mov_b32_e32 v1, 0
	v_cmp_eq_u32_e64 s[4:5], s4, v50
	s_and_saveexec_b64 s[10:11], s[4:5]
	s_cbranch_execz .LBB3_1137
; %bb.1132:
	v_mov_b32_e32 v4, 0
	global_load_dwordx2 v[7:8], v4, s[36:37] offset:24 glc
	s_waitcnt vmcnt(0)
	buffer_wbinvl1_vol
	global_load_dwordx2 v[0:1], v4, s[36:37] offset:40
	global_load_dwordx2 v[5:6], v4, s[36:37]
	s_waitcnt vmcnt(1)
	v_and_b32_e32 v0, v0, v7
	v_and_b32_e32 v1, v1, v8
	v_mul_lo_u32 v1, v1, 24
	v_mul_hi_u32 v9, v0, 24
	v_mul_lo_u32 v0, v0, 24
	v_add_u32_e32 v1, v9, v1
	s_waitcnt vmcnt(0)
	v_add_co_u32_e32 v0, vcc, v5, v0
	v_addc_co_u32_e32 v1, vcc, v6, v1, vcc
	global_load_dwordx2 v[5:6], v[0:1], off glc
	s_waitcnt vmcnt(0)
	global_atomic_cmpswap_x2 v[0:1], v4, v[5:8], s[36:37] offset:24 glc
	s_waitcnt vmcnt(0)
	buffer_wbinvl1_vol
	v_cmp_ne_u64_e32 vcc, v[0:1], v[7:8]
	s_and_saveexec_b64 s[16:17], vcc
	s_cbranch_execz .LBB3_1136
; %bb.1133:
	s_mov_b64 s[18:19], 0
.LBB3_1134:                             ; =>This Inner Loop Header: Depth=1
	s_sleep 1
	global_load_dwordx2 v[5:6], v4, s[36:37] offset:40
	global_load_dwordx2 v[9:10], v4, s[36:37]
	v_mov_b32_e32 v8, v1
	v_mov_b32_e32 v7, v0
	s_waitcnt vmcnt(1)
	v_and_b32_e32 v0, v5, v7
	s_waitcnt vmcnt(0)
	v_mad_u64_u32 v[0:1], s[20:21], v0, 24, v[9:10]
	v_and_b32_e32 v5, v6, v8
	v_mad_u64_u32 v[5:6], s[20:21], v5, 24, v[1:2]
	v_mov_b32_e32 v1, v5
	global_load_dwordx2 v[5:6], v[0:1], off glc
	s_waitcnt vmcnt(0)
	global_atomic_cmpswap_x2 v[0:1], v4, v[5:8], s[36:37] offset:24 glc
	s_waitcnt vmcnt(0)
	buffer_wbinvl1_vol
	v_cmp_eq_u64_e32 vcc, v[0:1], v[7:8]
	s_or_b64 s[18:19], vcc, s[18:19]
	s_andn2_b64 exec, exec, s[18:19]
	s_cbranch_execnz .LBB3_1134
; %bb.1135:
	s_or_b64 exec, exec, s[18:19]
.LBB3_1136:
	s_or_b64 exec, exec, s[16:17]
.LBB3_1137:
	s_or_b64 exec, exec, s[10:11]
	v_mov_b32_e32 v5, 0
	global_load_dwordx2 v[10:11], v5, s[36:37] offset:40
	global_load_dwordx4 v[6:9], v5, s[36:37]
	v_readfirstlane_b32 s10, v0
	v_readfirstlane_b32 s11, v1
	s_mov_b64 s[16:17], exec
	s_waitcnt vmcnt(1)
	v_readfirstlane_b32 s18, v10
	v_readfirstlane_b32 s19, v11
	s_and_b64 s[18:19], s[10:11], s[18:19]
	s_mul_i32 s15, s19, 24
	s_mul_hi_u32 s20, s18, 24
	s_mul_i32 s21, s18, 24
	s_add_i32 s15, s20, s15
	v_mov_b32_e32 v0, s15
	s_waitcnt vmcnt(0)
	v_add_co_u32_e32 v10, vcc, s21, v6
	v_addc_co_u32_e32 v11, vcc, v7, v0, vcc
	s_and_saveexec_b64 s[20:21], s[4:5]
	s_cbranch_execz .LBB3_1139
; %bb.1138:
	v_mov_b32_e32 v12, s16
	v_mov_b32_e32 v13, s17
	;; [unrolled: 1-line block ×4, first 2 shown]
	global_store_dwordx4 v[10:11], v[12:15], off offset:8
.LBB3_1139:
	s_or_b64 exec, exec, s[20:21]
	s_lshl_b64 s[16:17], s[18:19], 12
	v_mov_b32_e32 v0, s17
	v_add_co_u32_e32 v1, vcc, s16, v8
	v_addc_co_u32_e32 v0, vcc, v9, v0, vcc
	s_movk_i32 s15, 0xff1d
	v_and_or_b32 v2, v2, s15, 34
	s_mov_b32 s16, 0
	v_mov_b32_e32 v4, 58
	v_readfirstlane_b32 s20, v1
	v_readfirstlane_b32 s21, v0
	s_mov_b32 s17, s16
	s_mov_b32 s18, s16
	s_mov_b32 s19, s16
	s_nop 1
	global_store_dwordx4 v39, v[2:5], s[20:21]
	v_mov_b32_e32 v0, s16
	v_mov_b32_e32 v1, s17
	;; [unrolled: 1-line block ×4, first 2 shown]
	global_store_dwordx4 v39, v[0:3], s[20:21] offset:16
	global_store_dwordx4 v39, v[0:3], s[20:21] offset:32
	;; [unrolled: 1-line block ×3, first 2 shown]
	s_and_saveexec_b64 s[16:17], s[4:5]
	s_cbranch_execz .LBB3_1147
; %bb.1140:
	v_mov_b32_e32 v8, 0
	global_load_dwordx2 v[14:15], v8, s[36:37] offset:32 glc
	global_load_dwordx2 v[0:1], v8, s[36:37] offset:40
	v_mov_b32_e32 v12, s10
	v_mov_b32_e32 v13, s11
	s_waitcnt vmcnt(0)
	v_readfirstlane_b32 s18, v0
	v_readfirstlane_b32 s19, v1
	s_and_b64 s[18:19], s[18:19], s[10:11]
	s_mul_i32 s15, s19, 24
	s_mul_hi_u32 s19, s18, 24
	s_mul_i32 s18, s18, 24
	s_add_i32 s15, s19, s15
	v_mov_b32_e32 v0, s15
	v_add_co_u32_e32 v4, vcc, s18, v6
	v_addc_co_u32_e32 v5, vcc, v7, v0, vcc
	global_store_dwordx2 v[4:5], v[14:15], off
	s_waitcnt vmcnt(0)
	global_atomic_cmpswap_x2 v[2:3], v8, v[12:15], s[36:37] offset:32 glc
	s_waitcnt vmcnt(0)
	v_cmp_ne_u64_e32 vcc, v[2:3], v[14:15]
	s_and_saveexec_b64 s[18:19], vcc
	s_cbranch_execz .LBB3_1143
; %bb.1141:
	s_mov_b64 s[20:21], 0
.LBB3_1142:                             ; =>This Inner Loop Header: Depth=1
	s_sleep 1
	global_store_dwordx2 v[4:5], v[2:3], off
	v_mov_b32_e32 v0, s10
	v_mov_b32_e32 v1, s11
	s_waitcnt vmcnt(0)
	global_atomic_cmpswap_x2 v[0:1], v8, v[0:3], s[36:37] offset:32 glc
	s_waitcnt vmcnt(0)
	v_cmp_eq_u64_e32 vcc, v[0:1], v[2:3]
	v_mov_b32_e32 v3, v1
	s_or_b64 s[20:21], vcc, s[20:21]
	v_mov_b32_e32 v2, v0
	s_andn2_b64 exec, exec, s[20:21]
	s_cbranch_execnz .LBB3_1142
.LBB3_1143:
	s_or_b64 exec, exec, s[18:19]
	v_mov_b32_e32 v3, 0
	global_load_dwordx2 v[0:1], v3, s[36:37] offset:16
	s_mov_b64 s[18:19], exec
	v_mbcnt_lo_u32_b32 v2, s18, 0
	v_mbcnt_hi_u32_b32 v2, s19, v2
	v_cmp_eq_u32_e32 vcc, 0, v2
	s_and_saveexec_b64 s[20:21], vcc
	s_cbranch_execz .LBB3_1145
; %bb.1144:
	s_bcnt1_i32_b64 s15, s[18:19]
	v_mov_b32_e32 v2, s15
	s_waitcnt vmcnt(0)
	global_atomic_add_x2 v[0:1], v[2:3], off offset:8
.LBB3_1145:
	s_or_b64 exec, exec, s[20:21]
	s_waitcnt vmcnt(0)
	global_load_dwordx2 v[2:3], v[0:1], off offset:16
	s_waitcnt vmcnt(0)
	v_cmp_eq_u64_e32 vcc, 0, v[2:3]
	s_cbranch_vccnz .LBB3_1147
; %bb.1146:
	global_load_dword v0, v[0:1], off offset:24
	v_mov_b32_e32 v1, 0
	s_waitcnt vmcnt(0)
	global_store_dwordx2 v[2:3], v[0:1], off
	v_and_b32_e32 v0, 0xffffff, v0
	v_readfirstlane_b32 m0, v0
	s_sendmsg sendmsg(MSG_INTERRUPT)
.LBB3_1147:
	s_or_b64 exec, exec, s[16:17]
	s_branch .LBB3_1151
.LBB3_1148:                             ;   in Loop: Header=BB3_1151 Depth=1
	s_or_b64 exec, exec, s[16:17]
	v_readfirstlane_b32 s15, v0
	s_cmp_eq_u32 s15, 0
	s_cbranch_scc1 .LBB3_1150
; %bb.1149:                             ;   in Loop: Header=BB3_1151 Depth=1
	s_sleep 1
	s_cbranch_execnz .LBB3_1151
	s_branch .LBB3_1153
.LBB3_1150:
	s_branch .LBB3_1153
.LBB3_1151:                             ; =>This Inner Loop Header: Depth=1
	v_mov_b32_e32 v0, 1
	s_and_saveexec_b64 s[16:17], s[4:5]
	s_cbranch_execz .LBB3_1148
; %bb.1152:                             ;   in Loop: Header=BB3_1151 Depth=1
	global_load_dword v0, v[10:11], off offset:20 glc
	s_waitcnt vmcnt(0)
	buffer_wbinvl1_vol
	v_and_b32_e32 v0, 1, v0
	s_branch .LBB3_1148
.LBB3_1153:
	s_and_saveexec_b64 s[16:17], s[4:5]
	s_cbranch_execz .LBB3_1156
; %bb.1154:
	v_mov_b32_e32 v6, 0
	global_load_dwordx2 v[2:3], v6, s[36:37] offset:40
	global_load_dwordx2 v[7:8], v6, s[36:37] offset:24 glc
	global_load_dwordx2 v[4:5], v6, s[36:37]
	v_mov_b32_e32 v1, s11
	s_mov_b64 s[4:5], 0
	s_waitcnt vmcnt(2)
	v_add_co_u32_e32 v9, vcc, 1, v2
	v_addc_co_u32_e32 v10, vcc, 0, v3, vcc
	v_add_co_u32_e32 v0, vcc, s10, v9
	v_addc_co_u32_e32 v1, vcc, v10, v1, vcc
	v_cmp_eq_u64_e32 vcc, 0, v[0:1]
	v_cndmask_b32_e32 v1, v1, v10, vcc
	v_cndmask_b32_e32 v0, v0, v9, vcc
	v_and_b32_e32 v3, v1, v3
	v_and_b32_e32 v2, v0, v2
	v_mul_lo_u32 v3, v3, 24
	v_mul_hi_u32 v9, v2, 24
	v_mul_lo_u32 v10, v2, 24
	s_waitcnt vmcnt(1)
	v_mov_b32_e32 v2, v7
	v_add_u32_e32 v3, v9, v3
	s_waitcnt vmcnt(0)
	v_add_co_u32_e32 v4, vcc, v4, v10
	v_addc_co_u32_e32 v5, vcc, v5, v3, vcc
	global_store_dwordx2 v[4:5], v[7:8], off
	v_mov_b32_e32 v3, v8
	s_waitcnt vmcnt(0)
	global_atomic_cmpswap_x2 v[2:3], v6, v[0:3], s[36:37] offset:24 glc
	s_waitcnt vmcnt(0)
	v_cmp_ne_u64_e32 vcc, v[2:3], v[7:8]
	s_and_b64 exec, exec, vcc
	s_cbranch_execz .LBB3_1156
.LBB3_1155:                             ; =>This Inner Loop Header: Depth=1
	s_sleep 1
	global_store_dwordx2 v[4:5], v[2:3], off
	s_waitcnt vmcnt(0)
	global_atomic_cmpswap_x2 v[7:8], v6, v[0:3], s[36:37] offset:24 glc
	s_waitcnt vmcnt(0)
	v_cmp_eq_u64_e32 vcc, v[7:8], v[2:3]
	v_mov_b32_e32 v2, v7
	s_or_b64 s[4:5], vcc, s[4:5]
	v_mov_b32_e32 v3, v8
	s_andn2_b64 exec, exec, s[4:5]
	s_cbranch_execnz .LBB3_1155
.LBB3_1156:
	s_or_b64 exec, exec, s[16:17]
	v_readfirstlane_b32 s4, v50
	v_mov_b32_e32 v5, 0
	v_mov_b32_e32 v6, 0
	v_cmp_eq_u32_e64 s[4:5], s4, v50
	s_and_saveexec_b64 s[10:11], s[4:5]
	s_cbranch_execz .LBB3_1162
; %bb.1157:
	v_mov_b32_e32 v0, 0
	global_load_dwordx2 v[3:4], v0, s[36:37] offset:24 glc
	s_waitcnt vmcnt(0)
	buffer_wbinvl1_vol
	global_load_dwordx2 v[1:2], v0, s[36:37] offset:40
	global_load_dwordx2 v[5:6], v0, s[36:37]
	s_waitcnt vmcnt(1)
	v_and_b32_e32 v1, v1, v3
	v_and_b32_e32 v2, v2, v4
	v_mul_lo_u32 v2, v2, 24
	v_mul_hi_u32 v7, v1, 24
	v_mul_lo_u32 v1, v1, 24
	v_add_u32_e32 v2, v7, v2
	s_waitcnt vmcnt(0)
	v_add_co_u32_e32 v1, vcc, v5, v1
	v_addc_co_u32_e32 v2, vcc, v6, v2, vcc
	global_load_dwordx2 v[1:2], v[1:2], off glc
	s_waitcnt vmcnt(0)
	global_atomic_cmpswap_x2 v[5:6], v0, v[1:4], s[36:37] offset:24 glc
	s_waitcnt vmcnt(0)
	buffer_wbinvl1_vol
	v_cmp_ne_u64_e32 vcc, v[5:6], v[3:4]
	s_and_saveexec_b64 s[16:17], vcc
	s_cbranch_execz .LBB3_1161
; %bb.1158:
	s_mov_b64 s[18:19], 0
.LBB3_1159:                             ; =>This Inner Loop Header: Depth=1
	s_sleep 1
	global_load_dwordx2 v[1:2], v0, s[36:37] offset:40
	global_load_dwordx2 v[7:8], v0, s[36:37]
	v_mov_b32_e32 v3, v5
	v_mov_b32_e32 v4, v6
	s_waitcnt vmcnt(1)
	v_and_b32_e32 v1, v1, v3
	s_waitcnt vmcnt(0)
	v_mad_u64_u32 v[5:6], s[20:21], v1, 24, v[7:8]
	v_and_b32_e32 v2, v2, v4
	v_mov_b32_e32 v1, v6
	v_mad_u64_u32 v[1:2], s[20:21], v2, 24, v[1:2]
	v_mov_b32_e32 v6, v1
	global_load_dwordx2 v[1:2], v[5:6], off glc
	s_waitcnt vmcnt(0)
	global_atomic_cmpswap_x2 v[5:6], v0, v[1:4], s[36:37] offset:24 glc
	s_waitcnt vmcnt(0)
	buffer_wbinvl1_vol
	v_cmp_eq_u64_e32 vcc, v[5:6], v[3:4]
	s_or_b64 s[18:19], vcc, s[18:19]
	s_andn2_b64 exec, exec, s[18:19]
	s_cbranch_execnz .LBB3_1159
; %bb.1160:
	s_or_b64 exec, exec, s[18:19]
.LBB3_1161:
	s_or_b64 exec, exec, s[16:17]
.LBB3_1162:
	s_or_b64 exec, exec, s[10:11]
	v_mov_b32_e32 v4, 0
	global_load_dwordx2 v[7:8], v4, s[36:37] offset:40
	global_load_dwordx4 v[0:3], v4, s[36:37]
	v_readfirstlane_b32 s10, v5
	v_readfirstlane_b32 s11, v6
	s_mov_b64 s[16:17], exec
	s_waitcnt vmcnt(1)
	v_readfirstlane_b32 s18, v7
	v_readfirstlane_b32 s19, v8
	s_and_b64 s[18:19], s[10:11], s[18:19]
	s_mul_i32 s15, s19, 24
	s_mul_hi_u32 s20, s18, 24
	s_mul_i32 s21, s18, 24
	s_add_i32 s15, s20, s15
	v_mov_b32_e32 v5, s15
	s_waitcnt vmcnt(0)
	v_add_co_u32_e32 v7, vcc, s21, v0
	v_addc_co_u32_e32 v8, vcc, v1, v5, vcc
	s_and_saveexec_b64 s[20:21], s[4:5]
	s_cbranch_execz .LBB3_1164
; %bb.1163:
	v_mov_b32_e32 v9, s16
	v_mov_b32_e32 v10, s17
	;; [unrolled: 1-line block ×4, first 2 shown]
	global_store_dwordx4 v[7:8], v[9:12], off offset:8
.LBB3_1164:
	s_or_b64 exec, exec, s[20:21]
	s_lshl_b64 s[16:17], s[18:19], 12
	v_mov_b32_e32 v5, s17
	v_add_co_u32_e32 v2, vcc, s16, v2
	v_addc_co_u32_e32 v11, vcc, v3, v5, vcc
	s_mov_b32 s16, 0
	v_mov_b32_e32 v3, 33
	v_mov_b32_e32 v5, v4
	v_mov_b32_e32 v6, v4
	v_readfirstlane_b32 s20, v2
	v_readfirstlane_b32 s21, v11
	v_add_co_u32_e32 v9, vcc, v2, v39
	s_mov_b32 s17, s16
	s_mov_b32 s18, s16
	s_mov_b32 s19, s16
	s_nop 0
	global_store_dwordx4 v39, v[3:6], s[20:21]
	v_mov_b32_e32 v2, s16
	v_addc_co_u32_e32 v10, vcc, 0, v11, vcc
	v_mov_b32_e32 v3, s17
	v_mov_b32_e32 v4, s18
	;; [unrolled: 1-line block ×3, first 2 shown]
	global_store_dwordx4 v39, v[2:5], s[20:21] offset:16
	global_store_dwordx4 v39, v[2:5], s[20:21] offset:32
	;; [unrolled: 1-line block ×3, first 2 shown]
	s_and_saveexec_b64 s[16:17], s[4:5]
	s_cbranch_execz .LBB3_1172
; %bb.1165:
	v_mov_b32_e32 v6, 0
	global_load_dwordx2 v[13:14], v6, s[36:37] offset:32 glc
	global_load_dwordx2 v[2:3], v6, s[36:37] offset:40
	v_mov_b32_e32 v11, s10
	v_mov_b32_e32 v12, s11
	s_waitcnt vmcnt(0)
	v_readfirstlane_b32 s18, v2
	v_readfirstlane_b32 s19, v3
	s_and_b64 s[18:19], s[18:19], s[10:11]
	s_mul_i32 s15, s19, 24
	s_mul_hi_u32 s19, s18, 24
	s_mul_i32 s18, s18, 24
	s_add_i32 s15, s19, s15
	v_mov_b32_e32 v2, s15
	v_add_co_u32_e32 v4, vcc, s18, v0
	v_addc_co_u32_e32 v5, vcc, v1, v2, vcc
	global_store_dwordx2 v[4:5], v[13:14], off
	s_waitcnt vmcnt(0)
	global_atomic_cmpswap_x2 v[2:3], v6, v[11:14], s[36:37] offset:32 glc
	s_waitcnt vmcnt(0)
	v_cmp_ne_u64_e32 vcc, v[2:3], v[13:14]
	s_and_saveexec_b64 s[18:19], vcc
	s_cbranch_execz .LBB3_1168
; %bb.1166:
	s_mov_b64 s[20:21], 0
.LBB3_1167:                             ; =>This Inner Loop Header: Depth=1
	s_sleep 1
	global_store_dwordx2 v[4:5], v[2:3], off
	v_mov_b32_e32 v0, s10
	v_mov_b32_e32 v1, s11
	s_waitcnt vmcnt(0)
	global_atomic_cmpswap_x2 v[0:1], v6, v[0:3], s[36:37] offset:32 glc
	s_waitcnt vmcnt(0)
	v_cmp_eq_u64_e32 vcc, v[0:1], v[2:3]
	v_mov_b32_e32 v3, v1
	s_or_b64 s[20:21], vcc, s[20:21]
	v_mov_b32_e32 v2, v0
	s_andn2_b64 exec, exec, s[20:21]
	s_cbranch_execnz .LBB3_1167
.LBB3_1168:
	s_or_b64 exec, exec, s[18:19]
	v_mov_b32_e32 v3, 0
	global_load_dwordx2 v[0:1], v3, s[36:37] offset:16
	s_mov_b64 s[18:19], exec
	v_mbcnt_lo_u32_b32 v2, s18, 0
	v_mbcnt_hi_u32_b32 v2, s19, v2
	v_cmp_eq_u32_e32 vcc, 0, v2
	s_and_saveexec_b64 s[20:21], vcc
	s_cbranch_execz .LBB3_1170
; %bb.1169:
	s_bcnt1_i32_b64 s15, s[18:19]
	v_mov_b32_e32 v2, s15
	s_waitcnt vmcnt(0)
	global_atomic_add_x2 v[0:1], v[2:3], off offset:8
.LBB3_1170:
	s_or_b64 exec, exec, s[20:21]
	s_waitcnt vmcnt(0)
	global_load_dwordx2 v[2:3], v[0:1], off offset:16
	s_waitcnt vmcnt(0)
	v_cmp_eq_u64_e32 vcc, 0, v[2:3]
	s_cbranch_vccnz .LBB3_1172
; %bb.1171:
	global_load_dword v0, v[0:1], off offset:24
	v_mov_b32_e32 v1, 0
	s_waitcnt vmcnt(0)
	global_store_dwordx2 v[2:3], v[0:1], off
	v_and_b32_e32 v0, 0xffffff, v0
	v_readfirstlane_b32 m0, v0
	s_sendmsg sendmsg(MSG_INTERRUPT)
.LBB3_1172:
	s_or_b64 exec, exec, s[16:17]
	s_branch .LBB3_1176
.LBB3_1173:                             ;   in Loop: Header=BB3_1176 Depth=1
	s_or_b64 exec, exec, s[16:17]
	v_readfirstlane_b32 s15, v0
	s_cmp_eq_u32 s15, 0
	s_cbranch_scc1 .LBB3_1175
; %bb.1174:                             ;   in Loop: Header=BB3_1176 Depth=1
	s_sleep 1
	s_cbranch_execnz .LBB3_1176
	s_branch .LBB3_1178
.LBB3_1175:
	s_branch .LBB3_1178
.LBB3_1176:                             ; =>This Inner Loop Header: Depth=1
	v_mov_b32_e32 v0, 1
	s_and_saveexec_b64 s[16:17], s[4:5]
	s_cbranch_execz .LBB3_1173
; %bb.1177:                             ;   in Loop: Header=BB3_1176 Depth=1
	global_load_dword v0, v[7:8], off offset:20 glc
	s_waitcnt vmcnt(0)
	buffer_wbinvl1_vol
	v_and_b32_e32 v0, 1, v0
	s_branch .LBB3_1173
.LBB3_1178:
	global_load_dwordx2 v[0:1], v[9:10], off
	s_and_saveexec_b64 s[16:17], s[4:5]
	s_cbranch_execz .LBB3_1181
; %bb.1179:
	v_mov_b32_e32 v8, 0
	global_load_dwordx2 v[4:5], v8, s[36:37] offset:40
	global_load_dwordx2 v[9:10], v8, s[36:37] offset:24 glc
	global_load_dwordx2 v[6:7], v8, s[36:37]
	v_mov_b32_e32 v3, s11
	s_mov_b64 s[4:5], 0
	s_waitcnt vmcnt(2)
	v_add_co_u32_e32 v11, vcc, 1, v4
	v_addc_co_u32_e32 v12, vcc, 0, v5, vcc
	v_add_co_u32_e32 v2, vcc, s10, v11
	v_addc_co_u32_e32 v3, vcc, v12, v3, vcc
	v_cmp_eq_u64_e32 vcc, 0, v[2:3]
	v_cndmask_b32_e32 v3, v3, v12, vcc
	v_cndmask_b32_e32 v2, v2, v11, vcc
	v_and_b32_e32 v5, v3, v5
	v_and_b32_e32 v4, v2, v4
	v_mul_lo_u32 v5, v5, 24
	v_mul_hi_u32 v11, v4, 24
	v_mul_lo_u32 v12, v4, 24
	s_waitcnt vmcnt(1)
	v_mov_b32_e32 v4, v9
	v_add_u32_e32 v5, v11, v5
	s_waitcnt vmcnt(0)
	v_add_co_u32_e32 v6, vcc, v6, v12
	v_addc_co_u32_e32 v7, vcc, v7, v5, vcc
	global_store_dwordx2 v[6:7], v[9:10], off
	v_mov_b32_e32 v5, v10
	s_waitcnt vmcnt(0)
	global_atomic_cmpswap_x2 v[4:5], v8, v[2:5], s[36:37] offset:24 glc
	s_waitcnt vmcnt(0)
	v_cmp_ne_u64_e32 vcc, v[4:5], v[9:10]
	s_and_b64 exec, exec, vcc
	s_cbranch_execz .LBB3_1181
.LBB3_1180:                             ; =>This Inner Loop Header: Depth=1
	s_sleep 1
	global_store_dwordx2 v[6:7], v[4:5], off
	s_waitcnt vmcnt(0)
	global_atomic_cmpswap_x2 v[9:10], v8, v[2:5], s[36:37] offset:24 glc
	s_waitcnt vmcnt(0)
	v_cmp_eq_u64_e32 vcc, v[9:10], v[4:5]
	v_mov_b32_e32 v4, v9
	s_or_b64 s[4:5], vcc, s[4:5]
	v_mov_b32_e32 v5, v10
	s_andn2_b64 exec, exec, s[4:5]
	s_cbranch_execnz .LBB3_1180
.LBB3_1181:
	s_or_b64 exec, exec, s[16:17]
	s_and_b64 vcc, exec, s[40:41]
	s_cbranch_vccz .LBB3_1266
; %bb.1182:
	s_waitcnt vmcnt(0)
	v_and_b32_e32 v31, 2, v0
	v_mov_b32_e32 v28, 0
	v_and_b32_e32 v2, -3, v0
	v_mov_b32_e32 v3, v1
	s_mov_b64 s[16:17], 3
	v_mov_b32_e32 v6, 2
	v_mov_b32_e32 v7, 1
	s_getpc_b64 s[10:11]
	s_add_u32 s10, s10, .str.6@rel32@lo+4
	s_addc_u32 s11, s11, .str.6@rel32@hi+12
	s_branch .LBB3_1184
.LBB3_1183:                             ;   in Loop: Header=BB3_1184 Depth=1
	s_or_b64 exec, exec, s[22:23]
	s_sub_u32 s16, s16, s18
	s_subb_u32 s17, s17, s19
	s_add_u32 s10, s10, s18
	s_addc_u32 s11, s11, s19
	s_cmp_lg_u64 s[16:17], 0
	s_cbranch_scc0 .LBB3_1265
.LBB3_1184:                             ; =>This Loop Header: Depth=1
                                        ;     Child Loop BB3_1187 Depth 2
                                        ;     Child Loop BB3_1194 Depth 2
	;; [unrolled: 1-line block ×11, first 2 shown]
	v_cmp_lt_u64_e64 s[4:5], s[16:17], 56
	v_cmp_gt_u64_e64 s[20:21], s[16:17], 7
	s_and_b64 s[4:5], s[4:5], exec
	s_cselect_b32 s19, s17, 0
	s_cselect_b32 s18, s16, 56
	s_and_b64 vcc, exec, s[20:21]
	s_cbranch_vccnz .LBB3_1189
; %bb.1185:                             ;   in Loop: Header=BB3_1184 Depth=1
	v_mov_b32_e32 v10, 0
	s_cmp_eq_u64 s[16:17], 0
	v_mov_b32_e32 v11, 0
	s_mov_b64 s[4:5], 0
	s_cbranch_scc1 .LBB3_1188
; %bb.1186:                             ;   in Loop: Header=BB3_1184 Depth=1
	v_mov_b32_e32 v10, 0
	s_lshl_b64 s[20:21], s[18:19], 3
	s_mov_b64 s[22:23], 0
	v_mov_b32_e32 v11, 0
	s_mov_b64 s[24:25], s[10:11]
.LBB3_1187:                             ;   Parent Loop BB3_1184 Depth=1
                                        ; =>  This Inner Loop Header: Depth=2
	global_load_ubyte v4, v28, s[24:25]
	s_waitcnt vmcnt(0)
	v_and_b32_e32 v27, 0xffff, v4
	v_lshlrev_b64 v[4:5], s22, v[27:28]
	s_add_u32 s22, s22, 8
	s_addc_u32 s23, s23, 0
	s_add_u32 s24, s24, 1
	s_addc_u32 s25, s25, 0
	v_or_b32_e32 v10, v4, v10
	s_cmp_lg_u32 s20, s22
	v_or_b32_e32 v11, v5, v11
	s_cbranch_scc1 .LBB3_1187
.LBB3_1188:                             ;   in Loop: Header=BB3_1184 Depth=1
	s_mov_b32 s15, 0
	s_andn2_b64 vcc, exec, s[4:5]
	s_mov_b64 s[4:5], s[10:11]
	s_cbranch_vccz .LBB3_1190
	s_branch .LBB3_1191
.LBB3_1189:                             ;   in Loop: Header=BB3_1184 Depth=1
                                        ; implicit-def: $vgpr10_vgpr11
                                        ; implicit-def: $sgpr15
	s_mov_b64 s[4:5], s[10:11]
.LBB3_1190:                             ;   in Loop: Header=BB3_1184 Depth=1
	global_load_dwordx2 v[10:11], v28, s[10:11]
	s_add_i32 s15, s18, -8
	s_add_u32 s4, s10, 8
	s_addc_u32 s5, s11, 0
.LBB3_1191:                             ;   in Loop: Header=BB3_1184 Depth=1
	s_cmp_gt_u32 s15, 7
	s_cbranch_scc1 .LBB3_1195
; %bb.1192:                             ;   in Loop: Header=BB3_1184 Depth=1
	s_cmp_eq_u32 s15, 0
	s_cbranch_scc1 .LBB3_1196
; %bb.1193:                             ;   in Loop: Header=BB3_1184 Depth=1
	v_mov_b32_e32 v12, 0
	s_mov_b64 s[20:21], 0
	v_mov_b32_e32 v13, 0
	s_mov_b64 s[22:23], 0
.LBB3_1194:                             ;   Parent Loop BB3_1184 Depth=1
                                        ; =>  This Inner Loop Header: Depth=2
	s_add_u32 s24, s4, s22
	s_addc_u32 s25, s5, s23
	global_load_ubyte v4, v28, s[24:25]
	s_add_u32 s22, s22, 1
	s_addc_u32 s23, s23, 0
	s_waitcnt vmcnt(0)
	v_and_b32_e32 v27, 0xffff, v4
	v_lshlrev_b64 v[4:5], s20, v[27:28]
	s_add_u32 s20, s20, 8
	s_addc_u32 s21, s21, 0
	v_or_b32_e32 v12, v4, v12
	s_cmp_lg_u32 s15, s22
	v_or_b32_e32 v13, v5, v13
	s_cbranch_scc1 .LBB3_1194
	s_branch .LBB3_1197
.LBB3_1195:                             ;   in Loop: Header=BB3_1184 Depth=1
                                        ; implicit-def: $vgpr12_vgpr13
                                        ; implicit-def: $sgpr24
	s_branch .LBB3_1198
.LBB3_1196:                             ;   in Loop: Header=BB3_1184 Depth=1
	v_mov_b32_e32 v12, 0
	v_mov_b32_e32 v13, 0
.LBB3_1197:                             ;   in Loop: Header=BB3_1184 Depth=1
	s_mov_b32 s24, 0
	s_cbranch_execnz .LBB3_1199
.LBB3_1198:                             ;   in Loop: Header=BB3_1184 Depth=1
	global_load_dwordx2 v[12:13], v28, s[4:5]
	s_add_i32 s24, s15, -8
	s_add_u32 s4, s4, 8
	s_addc_u32 s5, s5, 0
.LBB3_1199:                             ;   in Loop: Header=BB3_1184 Depth=1
	s_cmp_gt_u32 s24, 7
	s_cbranch_scc1 .LBB3_1203
; %bb.1200:                             ;   in Loop: Header=BB3_1184 Depth=1
	s_cmp_eq_u32 s24, 0
	s_cbranch_scc1 .LBB3_1204
; %bb.1201:                             ;   in Loop: Header=BB3_1184 Depth=1
	v_mov_b32_e32 v14, 0
	s_mov_b64 s[20:21], 0
	v_mov_b32_e32 v15, 0
	s_mov_b64 s[22:23], 0
.LBB3_1202:                             ;   Parent Loop BB3_1184 Depth=1
                                        ; =>  This Inner Loop Header: Depth=2
	s_add_u32 s26, s4, s22
	s_addc_u32 s27, s5, s23
	global_load_ubyte v4, v28, s[26:27]
	s_add_u32 s22, s22, 1
	s_addc_u32 s23, s23, 0
	s_waitcnt vmcnt(0)
	v_and_b32_e32 v27, 0xffff, v4
	v_lshlrev_b64 v[4:5], s20, v[27:28]
	s_add_u32 s20, s20, 8
	s_addc_u32 s21, s21, 0
	v_or_b32_e32 v14, v4, v14
	s_cmp_lg_u32 s24, s22
	v_or_b32_e32 v15, v5, v15
	s_cbranch_scc1 .LBB3_1202
	s_branch .LBB3_1205
.LBB3_1203:                             ;   in Loop: Header=BB3_1184 Depth=1
                                        ; implicit-def: $sgpr15
	s_branch .LBB3_1206
.LBB3_1204:                             ;   in Loop: Header=BB3_1184 Depth=1
	v_mov_b32_e32 v14, 0
	v_mov_b32_e32 v15, 0
.LBB3_1205:                             ;   in Loop: Header=BB3_1184 Depth=1
	s_mov_b32 s15, 0
	s_cbranch_execnz .LBB3_1207
.LBB3_1206:                             ;   in Loop: Header=BB3_1184 Depth=1
	global_load_dwordx2 v[14:15], v28, s[4:5]
	s_add_i32 s15, s24, -8
	s_add_u32 s4, s4, 8
	s_addc_u32 s5, s5, 0
.LBB3_1207:                             ;   in Loop: Header=BB3_1184 Depth=1
	s_cmp_gt_u32 s15, 7
	s_cbranch_scc1 .LBB3_1211
; %bb.1208:                             ;   in Loop: Header=BB3_1184 Depth=1
	s_cmp_eq_u32 s15, 0
	s_cbranch_scc1 .LBB3_1212
; %bb.1209:                             ;   in Loop: Header=BB3_1184 Depth=1
	v_mov_b32_e32 v16, 0
	s_mov_b64 s[20:21], 0
	v_mov_b32_e32 v17, 0
	s_mov_b64 s[22:23], 0
.LBB3_1210:                             ;   Parent Loop BB3_1184 Depth=1
                                        ; =>  This Inner Loop Header: Depth=2
	s_add_u32 s24, s4, s22
	s_addc_u32 s25, s5, s23
	global_load_ubyte v4, v28, s[24:25]
	s_add_u32 s22, s22, 1
	s_addc_u32 s23, s23, 0
	s_waitcnt vmcnt(0)
	v_and_b32_e32 v27, 0xffff, v4
	v_lshlrev_b64 v[4:5], s20, v[27:28]
	s_add_u32 s20, s20, 8
	s_addc_u32 s21, s21, 0
	v_or_b32_e32 v16, v4, v16
	s_cmp_lg_u32 s15, s22
	v_or_b32_e32 v17, v5, v17
	s_cbranch_scc1 .LBB3_1210
	s_branch .LBB3_1213
.LBB3_1211:                             ;   in Loop: Header=BB3_1184 Depth=1
                                        ; implicit-def: $vgpr16_vgpr17
                                        ; implicit-def: $sgpr24
	s_branch .LBB3_1214
.LBB3_1212:                             ;   in Loop: Header=BB3_1184 Depth=1
	v_mov_b32_e32 v16, 0
	v_mov_b32_e32 v17, 0
.LBB3_1213:                             ;   in Loop: Header=BB3_1184 Depth=1
	s_mov_b32 s24, 0
	s_cbranch_execnz .LBB3_1215
.LBB3_1214:                             ;   in Loop: Header=BB3_1184 Depth=1
	global_load_dwordx2 v[16:17], v28, s[4:5]
	s_add_i32 s24, s15, -8
	s_add_u32 s4, s4, 8
	s_addc_u32 s5, s5, 0
.LBB3_1215:                             ;   in Loop: Header=BB3_1184 Depth=1
	s_cmp_gt_u32 s24, 7
	s_cbranch_scc1 .LBB3_1219
; %bb.1216:                             ;   in Loop: Header=BB3_1184 Depth=1
	s_cmp_eq_u32 s24, 0
	s_cbranch_scc1 .LBB3_1220
; %bb.1217:                             ;   in Loop: Header=BB3_1184 Depth=1
	v_mov_b32_e32 v18, 0
	s_mov_b64 s[20:21], 0
	v_mov_b32_e32 v19, 0
	s_mov_b64 s[22:23], 0
.LBB3_1218:                             ;   Parent Loop BB3_1184 Depth=1
                                        ; =>  This Inner Loop Header: Depth=2
	s_add_u32 s26, s4, s22
	s_addc_u32 s27, s5, s23
	global_load_ubyte v4, v28, s[26:27]
	s_add_u32 s22, s22, 1
	s_addc_u32 s23, s23, 0
	s_waitcnt vmcnt(0)
	v_and_b32_e32 v27, 0xffff, v4
	v_lshlrev_b64 v[4:5], s20, v[27:28]
	s_add_u32 s20, s20, 8
	s_addc_u32 s21, s21, 0
	v_or_b32_e32 v18, v4, v18
	s_cmp_lg_u32 s24, s22
	v_or_b32_e32 v19, v5, v19
	s_cbranch_scc1 .LBB3_1218
	s_branch .LBB3_1221
.LBB3_1219:                             ;   in Loop: Header=BB3_1184 Depth=1
                                        ; implicit-def: $sgpr15
	s_branch .LBB3_1222
.LBB3_1220:                             ;   in Loop: Header=BB3_1184 Depth=1
	v_mov_b32_e32 v18, 0
	v_mov_b32_e32 v19, 0
.LBB3_1221:                             ;   in Loop: Header=BB3_1184 Depth=1
	s_mov_b32 s15, 0
	s_cbranch_execnz .LBB3_1223
.LBB3_1222:                             ;   in Loop: Header=BB3_1184 Depth=1
	global_load_dwordx2 v[18:19], v28, s[4:5]
	s_add_i32 s15, s24, -8
	s_add_u32 s4, s4, 8
	s_addc_u32 s5, s5, 0
.LBB3_1223:                             ;   in Loop: Header=BB3_1184 Depth=1
	s_cmp_gt_u32 s15, 7
	s_cbranch_scc1 .LBB3_1227
; %bb.1224:                             ;   in Loop: Header=BB3_1184 Depth=1
	s_cmp_eq_u32 s15, 0
	s_cbranch_scc1 .LBB3_1228
; %bb.1225:                             ;   in Loop: Header=BB3_1184 Depth=1
	v_mov_b32_e32 v20, 0
	s_mov_b64 s[20:21], 0
	v_mov_b32_e32 v21, 0
	s_mov_b64 s[22:23], 0
.LBB3_1226:                             ;   Parent Loop BB3_1184 Depth=1
                                        ; =>  This Inner Loop Header: Depth=2
	s_add_u32 s24, s4, s22
	s_addc_u32 s25, s5, s23
	global_load_ubyte v4, v28, s[24:25]
	s_add_u32 s22, s22, 1
	s_addc_u32 s23, s23, 0
	s_waitcnt vmcnt(0)
	v_and_b32_e32 v27, 0xffff, v4
	v_lshlrev_b64 v[4:5], s20, v[27:28]
	s_add_u32 s20, s20, 8
	s_addc_u32 s21, s21, 0
	v_or_b32_e32 v20, v4, v20
	s_cmp_lg_u32 s15, s22
	v_or_b32_e32 v21, v5, v21
	s_cbranch_scc1 .LBB3_1226
	s_branch .LBB3_1229
.LBB3_1227:                             ;   in Loop: Header=BB3_1184 Depth=1
                                        ; implicit-def: $vgpr20_vgpr21
                                        ; implicit-def: $sgpr24
	s_branch .LBB3_1230
.LBB3_1228:                             ;   in Loop: Header=BB3_1184 Depth=1
	v_mov_b32_e32 v20, 0
	v_mov_b32_e32 v21, 0
.LBB3_1229:                             ;   in Loop: Header=BB3_1184 Depth=1
	s_mov_b32 s24, 0
	s_cbranch_execnz .LBB3_1231
.LBB3_1230:                             ;   in Loop: Header=BB3_1184 Depth=1
	global_load_dwordx2 v[20:21], v28, s[4:5]
	s_add_i32 s24, s15, -8
	s_add_u32 s4, s4, 8
	s_addc_u32 s5, s5, 0
.LBB3_1231:                             ;   in Loop: Header=BB3_1184 Depth=1
	s_cmp_gt_u32 s24, 7
	s_cbranch_scc1 .LBB3_1235
; %bb.1232:                             ;   in Loop: Header=BB3_1184 Depth=1
	s_cmp_eq_u32 s24, 0
	s_cbranch_scc1 .LBB3_1236
; %bb.1233:                             ;   in Loop: Header=BB3_1184 Depth=1
	v_mov_b32_e32 v22, 0
	s_mov_b64 s[20:21], 0
	v_mov_b32_e32 v23, 0
	s_mov_b64 s[22:23], s[4:5]
.LBB3_1234:                             ;   Parent Loop BB3_1184 Depth=1
                                        ; =>  This Inner Loop Header: Depth=2
	global_load_ubyte v4, v28, s[22:23]
	s_add_i32 s24, s24, -1
	s_waitcnt vmcnt(0)
	v_and_b32_e32 v27, 0xffff, v4
	v_lshlrev_b64 v[4:5], s20, v[27:28]
	s_add_u32 s20, s20, 8
	s_addc_u32 s21, s21, 0
	s_add_u32 s22, s22, 1
	s_addc_u32 s23, s23, 0
	v_or_b32_e32 v22, v4, v22
	s_cmp_lg_u32 s24, 0
	v_or_b32_e32 v23, v5, v23
	s_cbranch_scc1 .LBB3_1234
	s_branch .LBB3_1237
.LBB3_1235:                             ;   in Loop: Header=BB3_1184 Depth=1
	s_branch .LBB3_1238
.LBB3_1236:                             ;   in Loop: Header=BB3_1184 Depth=1
	v_mov_b32_e32 v22, 0
	v_mov_b32_e32 v23, 0
.LBB3_1237:                             ;   in Loop: Header=BB3_1184 Depth=1
	s_cbranch_execnz .LBB3_1239
.LBB3_1238:                             ;   in Loop: Header=BB3_1184 Depth=1
	global_load_dwordx2 v[22:23], v28, s[4:5]
.LBB3_1239:                             ;   in Loop: Header=BB3_1184 Depth=1
	v_readfirstlane_b32 s4, v50
	s_waitcnt vmcnt(0)
	v_mov_b32_e32 v4, 0
	v_mov_b32_e32 v5, 0
	v_cmp_eq_u32_e64 s[4:5], s4, v50
	s_and_saveexec_b64 s[20:21], s[4:5]
	s_cbranch_execz .LBB3_1245
; %bb.1240:                             ;   in Loop: Header=BB3_1184 Depth=1
	global_load_dwordx2 v[26:27], v28, s[36:37] offset:24 glc
	s_waitcnt vmcnt(0)
	buffer_wbinvl1_vol
	global_load_dwordx2 v[4:5], v28, s[36:37] offset:40
	global_load_dwordx2 v[8:9], v28, s[36:37]
	s_waitcnt vmcnt(1)
	v_and_b32_e32 v4, v4, v26
	v_and_b32_e32 v5, v5, v27
	v_mul_lo_u32 v5, v5, 24
	v_mul_hi_u32 v24, v4, 24
	v_mul_lo_u32 v4, v4, 24
	v_add_u32_e32 v5, v24, v5
	s_waitcnt vmcnt(0)
	v_add_co_u32_e32 v4, vcc, v8, v4
	v_addc_co_u32_e32 v5, vcc, v9, v5, vcc
	global_load_dwordx2 v[24:25], v[4:5], off glc
	s_waitcnt vmcnt(0)
	global_atomic_cmpswap_x2 v[4:5], v28, v[24:27], s[36:37] offset:24 glc
	s_waitcnt vmcnt(0)
	buffer_wbinvl1_vol
	v_cmp_ne_u64_e32 vcc, v[4:5], v[26:27]
	s_and_saveexec_b64 s[22:23], vcc
	s_cbranch_execz .LBB3_1244
; %bb.1241:                             ;   in Loop: Header=BB3_1184 Depth=1
	s_mov_b64 s[24:25], 0
.LBB3_1242:                             ;   Parent Loop BB3_1184 Depth=1
                                        ; =>  This Inner Loop Header: Depth=2
	s_sleep 1
	global_load_dwordx2 v[8:9], v28, s[36:37] offset:40
	global_load_dwordx2 v[24:25], v28, s[36:37]
	v_mov_b32_e32 v27, v5
	v_mov_b32_e32 v26, v4
	s_waitcnt vmcnt(1)
	v_and_b32_e32 v4, v8, v26
	s_waitcnt vmcnt(0)
	v_mad_u64_u32 v[4:5], s[26:27], v4, 24, v[24:25]
	v_and_b32_e32 v8, v9, v27
	v_mad_u64_u32 v[8:9], s[26:27], v8, 24, v[5:6]
	v_mov_b32_e32 v5, v8
	global_load_dwordx2 v[24:25], v[4:5], off glc
	s_waitcnt vmcnt(0)
	global_atomic_cmpswap_x2 v[4:5], v28, v[24:27], s[36:37] offset:24 glc
	s_waitcnt vmcnt(0)
	buffer_wbinvl1_vol
	v_cmp_eq_u64_e32 vcc, v[4:5], v[26:27]
	s_or_b64 s[24:25], vcc, s[24:25]
	s_andn2_b64 exec, exec, s[24:25]
	s_cbranch_execnz .LBB3_1242
; %bb.1243:                             ;   in Loop: Header=BB3_1184 Depth=1
	s_or_b64 exec, exec, s[24:25]
.LBB3_1244:                             ;   in Loop: Header=BB3_1184 Depth=1
	s_or_b64 exec, exec, s[22:23]
.LBB3_1245:                             ;   in Loop: Header=BB3_1184 Depth=1
	s_or_b64 exec, exec, s[20:21]
	global_load_dwordx2 v[8:9], v28, s[36:37] offset:40
	global_load_dwordx4 v[24:27], v28, s[36:37]
	v_readfirstlane_b32 s20, v4
	v_readfirstlane_b32 s21, v5
	s_mov_b64 s[22:23], exec
	s_waitcnt vmcnt(1)
	v_readfirstlane_b32 s24, v8
	v_readfirstlane_b32 s25, v9
	s_and_b64 s[24:25], s[20:21], s[24:25]
	s_mul_i32 s15, s25, 24
	s_mul_hi_u32 s26, s24, 24
	s_mul_i32 s27, s24, 24
	s_add_i32 s15, s26, s15
	v_mov_b32_e32 v4, s15
	s_waitcnt vmcnt(0)
	v_add_co_u32_e32 v29, vcc, s27, v24
	v_addc_co_u32_e32 v30, vcc, v25, v4, vcc
	s_and_saveexec_b64 s[26:27], s[4:5]
	s_cbranch_execz .LBB3_1247
; %bb.1246:                             ;   in Loop: Header=BB3_1184 Depth=1
	v_mov_b32_e32 v4, s22
	v_mov_b32_e32 v5, s23
	global_store_dwordx4 v[29:30], v[4:7], off offset:8
.LBB3_1247:                             ;   in Loop: Header=BB3_1184 Depth=1
	s_or_b64 exec, exec, s[26:27]
	s_lshl_b64 s[22:23], s[24:25], 12
	v_mov_b32_e32 v4, s23
	v_add_co_u32_e32 v26, vcc, s22, v26
	v_addc_co_u32_e32 v32, vcc, v27, v4, vcc
	v_cmp_gt_u64_e64 vcc, s[16:17], 56
	v_or_b32_e32 v5, v2, v31
	s_lshl_b32 s15, s18, 2
	v_cndmask_b32_e32 v2, v5, v2, vcc
	s_add_i32 s15, s15, 28
	v_or_b32_e32 v4, 0, v3
	s_and_b32 s15, s15, 0x1e0
	v_and_b32_e32 v2, 0xffffff1f, v2
	v_cndmask_b32_e32 v9, v4, v3, vcc
	v_or_b32_e32 v8, s15, v2
	v_readfirstlane_b32 s22, v26
	v_readfirstlane_b32 s23, v32
	s_nop 4
	global_store_dwordx4 v39, v[8:11], s[22:23]
	global_store_dwordx4 v39, v[12:15], s[22:23] offset:16
	global_store_dwordx4 v39, v[16:19], s[22:23] offset:32
	;; [unrolled: 1-line block ×3, first 2 shown]
	s_and_saveexec_b64 s[22:23], s[4:5]
	s_cbranch_execz .LBB3_1255
; %bb.1248:                             ;   in Loop: Header=BB3_1184 Depth=1
	global_load_dwordx2 v[12:13], v28, s[36:37] offset:32 glc
	global_load_dwordx2 v[2:3], v28, s[36:37] offset:40
	v_mov_b32_e32 v10, s20
	v_mov_b32_e32 v11, s21
	s_waitcnt vmcnt(0)
	v_readfirstlane_b32 s24, v2
	v_readfirstlane_b32 s25, v3
	s_and_b64 s[24:25], s[24:25], s[20:21]
	s_mul_i32 s15, s25, 24
	s_mul_hi_u32 s25, s24, 24
	s_mul_i32 s24, s24, 24
	s_add_i32 s15, s25, s15
	v_mov_b32_e32 v2, s15
	v_add_co_u32_e32 v8, vcc, s24, v24
	v_addc_co_u32_e32 v9, vcc, v25, v2, vcc
	global_store_dwordx2 v[8:9], v[12:13], off
	s_waitcnt vmcnt(0)
	global_atomic_cmpswap_x2 v[4:5], v28, v[10:13], s[36:37] offset:32 glc
	s_waitcnt vmcnt(0)
	v_cmp_ne_u64_e32 vcc, v[4:5], v[12:13]
	s_and_saveexec_b64 s[24:25], vcc
	s_cbranch_execz .LBB3_1251
; %bb.1249:                             ;   in Loop: Header=BB3_1184 Depth=1
	s_mov_b64 s[26:27], 0
.LBB3_1250:                             ;   Parent Loop BB3_1184 Depth=1
                                        ; =>  This Inner Loop Header: Depth=2
	s_sleep 1
	global_store_dwordx2 v[8:9], v[4:5], off
	v_mov_b32_e32 v2, s20
	v_mov_b32_e32 v3, s21
	s_waitcnt vmcnt(0)
	global_atomic_cmpswap_x2 v[2:3], v28, v[2:5], s[36:37] offset:32 glc
	s_waitcnt vmcnt(0)
	v_cmp_eq_u64_e32 vcc, v[2:3], v[4:5]
	v_mov_b32_e32 v5, v3
	s_or_b64 s[26:27], vcc, s[26:27]
	v_mov_b32_e32 v4, v2
	s_andn2_b64 exec, exec, s[26:27]
	s_cbranch_execnz .LBB3_1250
.LBB3_1251:                             ;   in Loop: Header=BB3_1184 Depth=1
	s_or_b64 exec, exec, s[24:25]
	global_load_dwordx2 v[2:3], v28, s[36:37] offset:16
	s_mov_b64 s[26:27], exec
	v_mbcnt_lo_u32_b32 v4, s26, 0
	v_mbcnt_hi_u32_b32 v4, s27, v4
	v_cmp_eq_u32_e32 vcc, 0, v4
	s_and_saveexec_b64 s[24:25], vcc
	s_cbranch_execz .LBB3_1253
; %bb.1252:                             ;   in Loop: Header=BB3_1184 Depth=1
	s_bcnt1_i32_b64 s15, s[26:27]
	v_mov_b32_e32 v27, s15
	s_waitcnt vmcnt(0)
	global_atomic_add_x2 v[2:3], v[27:28], off offset:8
.LBB3_1253:                             ;   in Loop: Header=BB3_1184 Depth=1
	s_or_b64 exec, exec, s[24:25]
	s_waitcnt vmcnt(0)
	global_load_dwordx2 v[4:5], v[2:3], off offset:16
	s_waitcnt vmcnt(0)
	v_cmp_eq_u64_e32 vcc, 0, v[4:5]
	s_cbranch_vccnz .LBB3_1255
; %bb.1254:                             ;   in Loop: Header=BB3_1184 Depth=1
	global_load_dword v27, v[2:3], off offset:24
	s_waitcnt vmcnt(0)
	v_and_b32_e32 v2, 0xffffff, v27
	v_readfirstlane_b32 m0, v2
	global_store_dwordx2 v[4:5], v[27:28], off
	s_sendmsg sendmsg(MSG_INTERRUPT)
.LBB3_1255:                             ;   in Loop: Header=BB3_1184 Depth=1
	s_or_b64 exec, exec, s[22:23]
	v_add_co_u32_e32 v2, vcc, v26, v39
	v_addc_co_u32_e32 v3, vcc, 0, v32, vcc
	s_branch .LBB3_1259
.LBB3_1256:                             ;   in Loop: Header=BB3_1259 Depth=2
	s_or_b64 exec, exec, s[22:23]
	v_readfirstlane_b32 s15, v4
	s_cmp_eq_u32 s15, 0
	s_cbranch_scc1 .LBB3_1258
; %bb.1257:                             ;   in Loop: Header=BB3_1259 Depth=2
	s_sleep 1
	s_cbranch_execnz .LBB3_1259
	s_branch .LBB3_1261
.LBB3_1258:                             ;   in Loop: Header=BB3_1184 Depth=1
	s_branch .LBB3_1261
.LBB3_1259:                             ;   Parent Loop BB3_1184 Depth=1
                                        ; =>  This Inner Loop Header: Depth=2
	v_mov_b32_e32 v4, 1
	s_and_saveexec_b64 s[22:23], s[4:5]
	s_cbranch_execz .LBB3_1256
; %bb.1260:                             ;   in Loop: Header=BB3_1259 Depth=2
	global_load_dword v4, v[29:30], off offset:20 glc
	s_waitcnt vmcnt(0)
	buffer_wbinvl1_vol
	v_and_b32_e32 v4, 1, v4
	s_branch .LBB3_1256
.LBB3_1261:                             ;   in Loop: Header=BB3_1184 Depth=1
	global_load_dwordx4 v[2:5], v[2:3], off
	s_and_saveexec_b64 s[22:23], s[4:5]
	s_cbranch_execz .LBB3_1183
; %bb.1262:                             ;   in Loop: Header=BB3_1184 Depth=1
	global_load_dwordx2 v[4:5], v28, s[36:37] offset:40
	global_load_dwordx2 v[12:13], v28, s[36:37] offset:24 glc
	global_load_dwordx2 v[14:15], v28, s[36:37]
	v_mov_b32_e32 v9, s21
	s_waitcnt vmcnt(2)
	v_add_co_u32_e32 v10, vcc, 1, v4
	v_addc_co_u32_e32 v11, vcc, 0, v5, vcc
	v_add_co_u32_e32 v8, vcc, s20, v10
	v_addc_co_u32_e32 v9, vcc, v11, v9, vcc
	v_cmp_eq_u64_e32 vcc, 0, v[8:9]
	v_cndmask_b32_e32 v9, v9, v11, vcc
	v_cndmask_b32_e32 v8, v8, v10, vcc
	v_and_b32_e32 v5, v9, v5
	v_and_b32_e32 v4, v8, v4
	v_mul_lo_u32 v5, v5, 24
	v_mul_hi_u32 v11, v4, 24
	v_mul_lo_u32 v4, v4, 24
	s_waitcnt vmcnt(1)
	v_mov_b32_e32 v10, v12
	v_add_u32_e32 v5, v11, v5
	s_waitcnt vmcnt(0)
	v_add_co_u32_e32 v4, vcc, v14, v4
	v_addc_co_u32_e32 v5, vcc, v15, v5, vcc
	global_store_dwordx2 v[4:5], v[12:13], off
	v_mov_b32_e32 v11, v13
	s_waitcnt vmcnt(0)
	global_atomic_cmpswap_x2 v[10:11], v28, v[8:11], s[36:37] offset:24 glc
	s_waitcnt vmcnt(0)
	v_cmp_ne_u64_e32 vcc, v[10:11], v[12:13]
	s_and_b64 exec, exec, vcc
	s_cbranch_execz .LBB3_1183
; %bb.1263:                             ;   in Loop: Header=BB3_1184 Depth=1
	s_mov_b64 s[4:5], 0
.LBB3_1264:                             ;   Parent Loop BB3_1184 Depth=1
                                        ; =>  This Inner Loop Header: Depth=2
	s_sleep 1
	global_store_dwordx2 v[4:5], v[10:11], off
	s_waitcnt vmcnt(0)
	global_atomic_cmpswap_x2 v[12:13], v28, v[8:11], s[36:37] offset:24 glc
	s_waitcnt vmcnt(0)
	v_cmp_eq_u64_e32 vcc, v[12:13], v[10:11]
	v_mov_b32_e32 v10, v12
	s_or_b64 s[4:5], vcc, s[4:5]
	v_mov_b32_e32 v11, v13
	s_andn2_b64 exec, exec, s[4:5]
	s_cbranch_execnz .LBB3_1264
	s_branch .LBB3_1183
.LBB3_1265:
	s_branch .LBB3_1293
.LBB3_1266:
                                        ; implicit-def: $vgpr2_vgpr3
	s_cbranch_execz .LBB3_1293
; %bb.1267:
	v_readfirstlane_b32 s4, v50
	v_mov_b32_e32 v8, 0
	v_mov_b32_e32 v9, 0
	v_cmp_eq_u32_e64 s[4:5], s4, v50
	s_and_saveexec_b64 s[10:11], s[4:5]
	s_cbranch_execz .LBB3_1273
; %bb.1268:
	s_waitcnt vmcnt(0)
	v_mov_b32_e32 v2, 0
	global_load_dwordx2 v[5:6], v2, s[36:37] offset:24 glc
	s_waitcnt vmcnt(0)
	buffer_wbinvl1_vol
	global_load_dwordx2 v[3:4], v2, s[36:37] offset:40
	global_load_dwordx2 v[7:8], v2, s[36:37]
	s_waitcnt vmcnt(1)
	v_and_b32_e32 v3, v3, v5
	v_and_b32_e32 v4, v4, v6
	v_mul_lo_u32 v4, v4, 24
	v_mul_hi_u32 v9, v3, 24
	v_mul_lo_u32 v3, v3, 24
	v_add_u32_e32 v4, v9, v4
	s_waitcnt vmcnt(0)
	v_add_co_u32_e32 v3, vcc, v7, v3
	v_addc_co_u32_e32 v4, vcc, v8, v4, vcc
	global_load_dwordx2 v[3:4], v[3:4], off glc
	s_waitcnt vmcnt(0)
	global_atomic_cmpswap_x2 v[8:9], v2, v[3:6], s[36:37] offset:24 glc
	s_waitcnt vmcnt(0)
	buffer_wbinvl1_vol
	v_cmp_ne_u64_e32 vcc, v[8:9], v[5:6]
	s_and_saveexec_b64 s[16:17], vcc
	s_cbranch_execz .LBB3_1272
; %bb.1269:
	s_mov_b64 s[18:19], 0
.LBB3_1270:                             ; =>This Inner Loop Header: Depth=1
	s_sleep 1
	global_load_dwordx2 v[3:4], v2, s[36:37] offset:40
	global_load_dwordx2 v[10:11], v2, s[36:37]
	v_mov_b32_e32 v5, v8
	v_mov_b32_e32 v6, v9
	s_waitcnt vmcnt(1)
	v_and_b32_e32 v3, v3, v5
	s_waitcnt vmcnt(0)
	v_mad_u64_u32 v[7:8], s[20:21], v3, 24, v[10:11]
	v_and_b32_e32 v4, v4, v6
	v_mov_b32_e32 v3, v8
	v_mad_u64_u32 v[3:4], s[20:21], v4, 24, v[3:4]
	v_mov_b32_e32 v8, v3
	global_load_dwordx2 v[3:4], v[7:8], off glc
	s_waitcnt vmcnt(0)
	global_atomic_cmpswap_x2 v[8:9], v2, v[3:6], s[36:37] offset:24 glc
	s_waitcnt vmcnt(0)
	buffer_wbinvl1_vol
	v_cmp_eq_u64_e32 vcc, v[8:9], v[5:6]
	s_or_b64 s[18:19], vcc, s[18:19]
	s_andn2_b64 exec, exec, s[18:19]
	s_cbranch_execnz .LBB3_1270
; %bb.1271:
	s_or_b64 exec, exec, s[18:19]
.LBB3_1272:
	s_or_b64 exec, exec, s[16:17]
.LBB3_1273:
	s_or_b64 exec, exec, s[10:11]
	s_waitcnt vmcnt(0)
	v_mov_b32_e32 v2, 0
	global_load_dwordx2 v[10:11], v2, s[36:37] offset:40
	global_load_dwordx4 v[4:7], v2, s[36:37]
	v_readfirstlane_b32 s10, v8
	v_readfirstlane_b32 s11, v9
	s_mov_b64 s[16:17], exec
	s_waitcnt vmcnt(1)
	v_readfirstlane_b32 s18, v10
	v_readfirstlane_b32 s19, v11
	s_and_b64 s[18:19], s[10:11], s[18:19]
	s_mul_i32 s15, s19, 24
	s_mul_hi_u32 s20, s18, 24
	s_mul_i32 s21, s18, 24
	s_add_i32 s15, s20, s15
	v_mov_b32_e32 v3, s15
	s_waitcnt vmcnt(0)
	v_add_co_u32_e32 v8, vcc, s21, v4
	v_addc_co_u32_e32 v9, vcc, v5, v3, vcc
	s_and_saveexec_b64 s[20:21], s[4:5]
	s_cbranch_execz .LBB3_1275
; %bb.1274:
	v_mov_b32_e32 v10, s16
	v_mov_b32_e32 v11, s17
	;; [unrolled: 1-line block ×4, first 2 shown]
	global_store_dwordx4 v[8:9], v[10:13], off offset:8
.LBB3_1275:
	s_or_b64 exec, exec, s[20:21]
	s_lshl_b64 s[16:17], s[18:19], 12
	v_mov_b32_e32 v3, s17
	v_add_co_u32_e32 v10, vcc, s16, v6
	v_addc_co_u32_e32 v11, vcc, v7, v3, vcc
	s_movk_i32 s15, 0xff1f
	v_and_or_b32 v0, v0, s15, 32
	s_mov_b32 s16, 0
	v_mov_b32_e32 v3, v2
	v_readfirstlane_b32 s20, v10
	v_readfirstlane_b32 s21, v11
	v_add_co_u32_e32 v6, vcc, v10, v39
	s_mov_b32 s17, s16
	s_mov_b32 s18, s16
	s_mov_b32 s19, s16
	s_nop 0
	global_store_dwordx4 v39, v[0:3], s[20:21]
	v_addc_co_u32_e32 v7, vcc, 0, v11, vcc
	v_mov_b32_e32 v0, s16
	v_mov_b32_e32 v1, s17
	;; [unrolled: 1-line block ×4, first 2 shown]
	global_store_dwordx4 v39, v[0:3], s[20:21] offset:16
	global_store_dwordx4 v39, v[0:3], s[20:21] offset:32
	;; [unrolled: 1-line block ×3, first 2 shown]
	s_and_saveexec_b64 s[16:17], s[4:5]
	s_cbranch_execz .LBB3_1283
; %bb.1276:
	v_mov_b32_e32 v10, 0
	global_load_dwordx2 v[13:14], v10, s[36:37] offset:32 glc
	global_load_dwordx2 v[0:1], v10, s[36:37] offset:40
	v_mov_b32_e32 v11, s10
	v_mov_b32_e32 v12, s11
	s_waitcnt vmcnt(0)
	v_readfirstlane_b32 s18, v0
	v_readfirstlane_b32 s19, v1
	s_and_b64 s[18:19], s[18:19], s[10:11]
	s_mul_i32 s15, s19, 24
	s_mul_hi_u32 s19, s18, 24
	s_mul_i32 s18, s18, 24
	s_add_i32 s15, s19, s15
	v_mov_b32_e32 v0, s15
	v_add_co_u32_e32 v4, vcc, s18, v4
	v_addc_co_u32_e32 v5, vcc, v5, v0, vcc
	global_store_dwordx2 v[4:5], v[13:14], off
	s_waitcnt vmcnt(0)
	global_atomic_cmpswap_x2 v[2:3], v10, v[11:14], s[36:37] offset:32 glc
	s_waitcnt vmcnt(0)
	v_cmp_ne_u64_e32 vcc, v[2:3], v[13:14]
	s_and_saveexec_b64 s[18:19], vcc
	s_cbranch_execz .LBB3_1279
; %bb.1277:
	s_mov_b64 s[20:21], 0
.LBB3_1278:                             ; =>This Inner Loop Header: Depth=1
	s_sleep 1
	global_store_dwordx2 v[4:5], v[2:3], off
	v_mov_b32_e32 v0, s10
	v_mov_b32_e32 v1, s11
	s_waitcnt vmcnt(0)
	global_atomic_cmpswap_x2 v[0:1], v10, v[0:3], s[36:37] offset:32 glc
	s_waitcnt vmcnt(0)
	v_cmp_eq_u64_e32 vcc, v[0:1], v[2:3]
	v_mov_b32_e32 v3, v1
	s_or_b64 s[20:21], vcc, s[20:21]
	v_mov_b32_e32 v2, v0
	s_andn2_b64 exec, exec, s[20:21]
	s_cbranch_execnz .LBB3_1278
.LBB3_1279:
	s_or_b64 exec, exec, s[18:19]
	v_mov_b32_e32 v3, 0
	global_load_dwordx2 v[0:1], v3, s[36:37] offset:16
	s_mov_b64 s[18:19], exec
	v_mbcnt_lo_u32_b32 v2, s18, 0
	v_mbcnt_hi_u32_b32 v2, s19, v2
	v_cmp_eq_u32_e32 vcc, 0, v2
	s_and_saveexec_b64 s[20:21], vcc
	s_cbranch_execz .LBB3_1281
; %bb.1280:
	s_bcnt1_i32_b64 s15, s[18:19]
	v_mov_b32_e32 v2, s15
	s_waitcnt vmcnt(0)
	global_atomic_add_x2 v[0:1], v[2:3], off offset:8
.LBB3_1281:
	s_or_b64 exec, exec, s[20:21]
	s_waitcnt vmcnt(0)
	global_load_dwordx2 v[2:3], v[0:1], off offset:16
	s_waitcnt vmcnt(0)
	v_cmp_eq_u64_e32 vcc, 0, v[2:3]
	s_cbranch_vccnz .LBB3_1283
; %bb.1282:
	global_load_dword v0, v[0:1], off offset:24
	v_mov_b32_e32 v1, 0
	s_waitcnt vmcnt(0)
	global_store_dwordx2 v[2:3], v[0:1], off
	v_and_b32_e32 v0, 0xffffff, v0
	v_readfirstlane_b32 m0, v0
	s_sendmsg sendmsg(MSG_INTERRUPT)
.LBB3_1283:
	s_or_b64 exec, exec, s[16:17]
	s_branch .LBB3_1287
.LBB3_1284:                             ;   in Loop: Header=BB3_1287 Depth=1
	s_or_b64 exec, exec, s[16:17]
	v_readfirstlane_b32 s15, v0
	s_cmp_eq_u32 s15, 0
	s_cbranch_scc1 .LBB3_1286
; %bb.1285:                             ;   in Loop: Header=BB3_1287 Depth=1
	s_sleep 1
	s_cbranch_execnz .LBB3_1287
	s_branch .LBB3_1289
.LBB3_1286:
	s_branch .LBB3_1289
.LBB3_1287:                             ; =>This Inner Loop Header: Depth=1
	v_mov_b32_e32 v0, 1
	s_and_saveexec_b64 s[16:17], s[4:5]
	s_cbranch_execz .LBB3_1284
; %bb.1288:                             ;   in Loop: Header=BB3_1287 Depth=1
	global_load_dword v0, v[8:9], off offset:20 glc
	s_waitcnt vmcnt(0)
	buffer_wbinvl1_vol
	v_and_b32_e32 v0, 1, v0
	s_branch .LBB3_1284
.LBB3_1289:
	global_load_dwordx2 v[2:3], v[6:7], off
	s_and_saveexec_b64 s[16:17], s[4:5]
	s_cbranch_execz .LBB3_1292
; %bb.1290:
	v_mov_b32_e32 v8, 0
	global_load_dwordx2 v[0:1], v8, s[36:37] offset:40
	global_load_dwordx2 v[9:10], v8, s[36:37] offset:24 glc
	global_load_dwordx2 v[11:12], v8, s[36:37]
	v_mov_b32_e32 v5, s11
	s_mov_b64 s[4:5], 0
	s_waitcnt vmcnt(2)
	v_add_co_u32_e32 v6, vcc, 1, v0
	v_addc_co_u32_e32 v7, vcc, 0, v1, vcc
	v_add_co_u32_e32 v4, vcc, s10, v6
	v_addc_co_u32_e32 v5, vcc, v7, v5, vcc
	v_cmp_eq_u64_e32 vcc, 0, v[4:5]
	v_cndmask_b32_e32 v5, v5, v7, vcc
	v_cndmask_b32_e32 v4, v4, v6, vcc
	v_and_b32_e32 v1, v5, v1
	v_and_b32_e32 v0, v4, v0
	v_mul_lo_u32 v1, v1, 24
	v_mul_hi_u32 v7, v0, 24
	v_mul_lo_u32 v0, v0, 24
	s_waitcnt vmcnt(1)
	v_mov_b32_e32 v6, v9
	v_add_u32_e32 v1, v7, v1
	s_waitcnt vmcnt(0)
	v_add_co_u32_e32 v0, vcc, v11, v0
	v_addc_co_u32_e32 v1, vcc, v12, v1, vcc
	global_store_dwordx2 v[0:1], v[9:10], off
	v_mov_b32_e32 v7, v10
	s_waitcnt vmcnt(0)
	global_atomic_cmpswap_x2 v[6:7], v8, v[4:7], s[36:37] offset:24 glc
	s_waitcnt vmcnt(0)
	v_cmp_ne_u64_e32 vcc, v[6:7], v[9:10]
	s_and_b64 exec, exec, vcc
	s_cbranch_execz .LBB3_1292
.LBB3_1291:                             ; =>This Inner Loop Header: Depth=1
	s_sleep 1
	global_store_dwordx2 v[0:1], v[6:7], off
	s_waitcnt vmcnt(0)
	global_atomic_cmpswap_x2 v[9:10], v8, v[4:7], s[36:37] offset:24 glc
	s_waitcnt vmcnt(0)
	v_cmp_eq_u64_e32 vcc, v[9:10], v[6:7]
	v_mov_b32_e32 v6, v9
	s_or_b64 s[4:5], vcc, s[4:5]
	v_mov_b32_e32 v7, v10
	s_andn2_b64 exec, exec, s[4:5]
	s_cbranch_execnz .LBB3_1291
.LBB3_1292:
	s_or_b64 exec, exec, s[16:17]
.LBB3_1293:
	v_readfirstlane_b32 s4, v50
	s_waitcnt vmcnt(0)
	v_mov_b32_e32 v0, 0
	v_mov_b32_e32 v1, 0
	v_cmp_eq_u32_e64 s[4:5], s4, v50
	s_and_saveexec_b64 s[10:11], s[4:5]
	s_cbranch_execz .LBB3_1299
; %bb.1294:
	v_mov_b32_e32 v4, 0
	global_load_dwordx2 v[7:8], v4, s[36:37] offset:24 glc
	s_waitcnt vmcnt(0)
	buffer_wbinvl1_vol
	global_load_dwordx2 v[0:1], v4, s[36:37] offset:40
	global_load_dwordx2 v[5:6], v4, s[36:37]
	s_waitcnt vmcnt(1)
	v_and_b32_e32 v0, v0, v7
	v_and_b32_e32 v1, v1, v8
	v_mul_lo_u32 v1, v1, 24
	v_mul_hi_u32 v9, v0, 24
	v_mul_lo_u32 v0, v0, 24
	v_add_u32_e32 v1, v9, v1
	s_waitcnt vmcnt(0)
	v_add_co_u32_e32 v0, vcc, v5, v0
	v_addc_co_u32_e32 v1, vcc, v6, v1, vcc
	global_load_dwordx2 v[5:6], v[0:1], off glc
	s_waitcnt vmcnt(0)
	global_atomic_cmpswap_x2 v[0:1], v4, v[5:8], s[36:37] offset:24 glc
	s_waitcnt vmcnt(0)
	buffer_wbinvl1_vol
	v_cmp_ne_u64_e32 vcc, v[0:1], v[7:8]
	s_and_saveexec_b64 s[16:17], vcc
	s_cbranch_execz .LBB3_1298
; %bb.1295:
	s_mov_b64 s[18:19], 0
.LBB3_1296:                             ; =>This Inner Loop Header: Depth=1
	s_sleep 1
	global_load_dwordx2 v[5:6], v4, s[36:37] offset:40
	global_load_dwordx2 v[9:10], v4, s[36:37]
	v_mov_b32_e32 v8, v1
	v_mov_b32_e32 v7, v0
	s_waitcnt vmcnt(1)
	v_and_b32_e32 v0, v5, v7
	s_waitcnt vmcnt(0)
	v_mad_u64_u32 v[0:1], s[20:21], v0, 24, v[9:10]
	v_and_b32_e32 v5, v6, v8
	v_mad_u64_u32 v[5:6], s[20:21], v5, 24, v[1:2]
	v_mov_b32_e32 v1, v5
	global_load_dwordx2 v[5:6], v[0:1], off glc
	s_waitcnt vmcnt(0)
	global_atomic_cmpswap_x2 v[0:1], v4, v[5:8], s[36:37] offset:24 glc
	s_waitcnt vmcnt(0)
	buffer_wbinvl1_vol
	v_cmp_eq_u64_e32 vcc, v[0:1], v[7:8]
	s_or_b64 s[18:19], vcc, s[18:19]
	s_andn2_b64 exec, exec, s[18:19]
	s_cbranch_execnz .LBB3_1296
; %bb.1297:
	s_or_b64 exec, exec, s[18:19]
.LBB3_1298:
	s_or_b64 exec, exec, s[16:17]
.LBB3_1299:
	s_or_b64 exec, exec, s[10:11]
	v_mov_b32_e32 v5, 0
	global_load_dwordx2 v[10:11], v5, s[36:37] offset:40
	global_load_dwordx4 v[6:9], v5, s[36:37]
	v_readfirstlane_b32 s10, v0
	v_readfirstlane_b32 s11, v1
	s_mov_b64 s[16:17], exec
	s_waitcnt vmcnt(1)
	v_readfirstlane_b32 s18, v10
	v_readfirstlane_b32 s19, v11
	s_and_b64 s[18:19], s[10:11], s[18:19]
	s_mul_i32 s15, s19, 24
	s_mul_hi_u32 s20, s18, 24
	s_mul_i32 s21, s18, 24
	s_add_i32 s15, s20, s15
	v_mov_b32_e32 v0, s15
	s_waitcnt vmcnt(0)
	v_add_co_u32_e32 v10, vcc, s21, v6
	v_addc_co_u32_e32 v11, vcc, v7, v0, vcc
	s_and_saveexec_b64 s[20:21], s[4:5]
	s_cbranch_execz .LBB3_1301
; %bb.1300:
	v_mov_b32_e32 v12, s16
	v_mov_b32_e32 v13, s17
	;; [unrolled: 1-line block ×4, first 2 shown]
	global_store_dwordx4 v[10:11], v[12:15], off offset:8
.LBB3_1301:
	s_or_b64 exec, exec, s[20:21]
	s_lshl_b64 s[16:17], s[18:19], 12
	v_mov_b32_e32 v0, s17
	v_add_co_u32_e32 v1, vcc, s16, v8
	v_addc_co_u32_e32 v0, vcc, v9, v0, vcc
	s_movk_i32 s15, 0xff1d
	v_and_or_b32 v2, v2, s15, 34
	s_mov_b32 s16, 0
	v_mov_b32_e32 v4, 10
	v_readfirstlane_b32 s20, v1
	v_readfirstlane_b32 s21, v0
	s_mov_b32 s17, s16
	s_mov_b32 s18, s16
	;; [unrolled: 1-line block ×3, first 2 shown]
	s_nop 1
	global_store_dwordx4 v39, v[2:5], s[20:21]
	v_mov_b32_e32 v0, s16
	v_mov_b32_e32 v1, s17
	;; [unrolled: 1-line block ×4, first 2 shown]
	global_store_dwordx4 v39, v[0:3], s[20:21] offset:16
	global_store_dwordx4 v39, v[0:3], s[20:21] offset:32
	;; [unrolled: 1-line block ×3, first 2 shown]
	s_and_saveexec_b64 s[16:17], s[4:5]
	s_cbranch_execz .LBB3_1309
; %bb.1302:
	v_mov_b32_e32 v8, 0
	global_load_dwordx2 v[14:15], v8, s[36:37] offset:32 glc
	global_load_dwordx2 v[0:1], v8, s[36:37] offset:40
	v_mov_b32_e32 v12, s10
	v_mov_b32_e32 v13, s11
	s_waitcnt vmcnt(0)
	v_readfirstlane_b32 s18, v0
	v_readfirstlane_b32 s19, v1
	s_and_b64 s[18:19], s[18:19], s[10:11]
	s_mul_i32 s15, s19, 24
	s_mul_hi_u32 s19, s18, 24
	s_mul_i32 s18, s18, 24
	s_add_i32 s15, s19, s15
	v_mov_b32_e32 v0, s15
	v_add_co_u32_e32 v4, vcc, s18, v6
	v_addc_co_u32_e32 v5, vcc, v7, v0, vcc
	global_store_dwordx2 v[4:5], v[14:15], off
	s_waitcnt vmcnt(0)
	global_atomic_cmpswap_x2 v[2:3], v8, v[12:15], s[36:37] offset:32 glc
	s_waitcnt vmcnt(0)
	v_cmp_ne_u64_e32 vcc, v[2:3], v[14:15]
	s_and_saveexec_b64 s[18:19], vcc
	s_cbranch_execz .LBB3_1305
; %bb.1303:
	s_mov_b64 s[20:21], 0
.LBB3_1304:                             ; =>This Inner Loop Header: Depth=1
	s_sleep 1
	global_store_dwordx2 v[4:5], v[2:3], off
	v_mov_b32_e32 v0, s10
	v_mov_b32_e32 v1, s11
	s_waitcnt vmcnt(0)
	global_atomic_cmpswap_x2 v[0:1], v8, v[0:3], s[36:37] offset:32 glc
	s_waitcnt vmcnt(0)
	v_cmp_eq_u64_e32 vcc, v[0:1], v[2:3]
	v_mov_b32_e32 v3, v1
	s_or_b64 s[20:21], vcc, s[20:21]
	v_mov_b32_e32 v2, v0
	s_andn2_b64 exec, exec, s[20:21]
	s_cbranch_execnz .LBB3_1304
.LBB3_1305:
	s_or_b64 exec, exec, s[18:19]
	v_mov_b32_e32 v3, 0
	global_load_dwordx2 v[0:1], v3, s[36:37] offset:16
	s_mov_b64 s[18:19], exec
	v_mbcnt_lo_u32_b32 v2, s18, 0
	v_mbcnt_hi_u32_b32 v2, s19, v2
	v_cmp_eq_u32_e32 vcc, 0, v2
	s_and_saveexec_b64 s[20:21], vcc
	s_cbranch_execz .LBB3_1307
; %bb.1306:
	s_bcnt1_i32_b64 s15, s[18:19]
	v_mov_b32_e32 v2, s15
	s_waitcnt vmcnt(0)
	global_atomic_add_x2 v[0:1], v[2:3], off offset:8
.LBB3_1307:
	s_or_b64 exec, exec, s[20:21]
	s_waitcnt vmcnt(0)
	global_load_dwordx2 v[2:3], v[0:1], off offset:16
	s_waitcnt vmcnt(0)
	v_cmp_eq_u64_e32 vcc, 0, v[2:3]
	s_cbranch_vccnz .LBB3_1309
; %bb.1308:
	global_load_dword v0, v[0:1], off offset:24
	v_mov_b32_e32 v1, 0
	s_waitcnt vmcnt(0)
	global_store_dwordx2 v[2:3], v[0:1], off
	v_and_b32_e32 v0, 0xffffff, v0
	v_readfirstlane_b32 m0, v0
	s_sendmsg sendmsg(MSG_INTERRUPT)
.LBB3_1309:
	s_or_b64 exec, exec, s[16:17]
	s_branch .LBB3_1313
.LBB3_1310:                             ;   in Loop: Header=BB3_1313 Depth=1
	s_or_b64 exec, exec, s[16:17]
	v_readfirstlane_b32 s15, v0
	s_cmp_eq_u32 s15, 0
	s_cbranch_scc1 .LBB3_1312
; %bb.1311:                             ;   in Loop: Header=BB3_1313 Depth=1
	s_sleep 1
	s_cbranch_execnz .LBB3_1313
	s_branch .LBB3_1315
.LBB3_1312:
	s_branch .LBB3_1315
.LBB3_1313:                             ; =>This Inner Loop Header: Depth=1
	v_mov_b32_e32 v0, 1
	s_and_saveexec_b64 s[16:17], s[4:5]
	s_cbranch_execz .LBB3_1310
; %bb.1314:                             ;   in Loop: Header=BB3_1313 Depth=1
	global_load_dword v0, v[10:11], off offset:20 glc
	s_waitcnt vmcnt(0)
	buffer_wbinvl1_vol
	v_and_b32_e32 v0, 1, v0
	s_branch .LBB3_1310
.LBB3_1315:
	s_and_saveexec_b64 s[16:17], s[4:5]
	s_cbranch_execz .LBB3_1318
; %bb.1316:
	v_mov_b32_e32 v6, 0
	global_load_dwordx2 v[2:3], v6, s[36:37] offset:40
	global_load_dwordx2 v[7:8], v6, s[36:37] offset:24 glc
	global_load_dwordx2 v[4:5], v6, s[36:37]
	v_mov_b32_e32 v1, s11
	s_mov_b64 s[4:5], 0
	s_waitcnt vmcnt(2)
	v_add_co_u32_e32 v9, vcc, 1, v2
	v_addc_co_u32_e32 v10, vcc, 0, v3, vcc
	v_add_co_u32_e32 v0, vcc, s10, v9
	v_addc_co_u32_e32 v1, vcc, v10, v1, vcc
	v_cmp_eq_u64_e32 vcc, 0, v[0:1]
	v_cndmask_b32_e32 v1, v1, v10, vcc
	v_cndmask_b32_e32 v0, v0, v9, vcc
	v_and_b32_e32 v3, v1, v3
	v_and_b32_e32 v2, v0, v2
	v_mul_lo_u32 v3, v3, 24
	v_mul_hi_u32 v9, v2, 24
	v_mul_lo_u32 v10, v2, 24
	s_waitcnt vmcnt(1)
	v_mov_b32_e32 v2, v7
	v_add_u32_e32 v3, v9, v3
	s_waitcnt vmcnt(0)
	v_add_co_u32_e32 v4, vcc, v4, v10
	v_addc_co_u32_e32 v5, vcc, v5, v3, vcc
	global_store_dwordx2 v[4:5], v[7:8], off
	v_mov_b32_e32 v3, v8
	s_waitcnt vmcnt(0)
	global_atomic_cmpswap_x2 v[2:3], v6, v[0:3], s[36:37] offset:24 glc
	s_waitcnt vmcnt(0)
	v_cmp_ne_u64_e32 vcc, v[2:3], v[7:8]
	s_and_b64 exec, exec, vcc
	s_cbranch_execz .LBB3_1318
.LBB3_1317:                             ; =>This Inner Loop Header: Depth=1
	s_sleep 1
	global_store_dwordx2 v[4:5], v[2:3], off
	s_waitcnt vmcnt(0)
	global_atomic_cmpswap_x2 v[7:8], v6, v[0:3], s[36:37] offset:24 glc
	s_waitcnt vmcnt(0)
	v_cmp_eq_u64_e32 vcc, v[7:8], v[2:3]
	v_mov_b32_e32 v2, v7
	s_or_b64 s[4:5], vcc, s[4:5]
	v_mov_b32_e32 v3, v8
	s_andn2_b64 exec, exec, s[4:5]
	s_cbranch_execnz .LBB3_1317
.LBB3_1318:
	s_or_b64 exec, exec, s[16:17]
	v_readfirstlane_b32 s4, v50
	v_mov_b32_e32 v5, 0
	v_mov_b32_e32 v6, 0
	v_cmp_eq_u32_e64 s[4:5], s4, v50
	s_and_saveexec_b64 s[10:11], s[4:5]
	s_cbranch_execz .LBB3_1324
; %bb.1319:
	v_mov_b32_e32 v0, 0
	global_load_dwordx2 v[3:4], v0, s[36:37] offset:24 glc
	s_waitcnt vmcnt(0)
	buffer_wbinvl1_vol
	global_load_dwordx2 v[1:2], v0, s[36:37] offset:40
	global_load_dwordx2 v[5:6], v0, s[36:37]
	s_waitcnt vmcnt(1)
	v_and_b32_e32 v1, v1, v3
	v_and_b32_e32 v2, v2, v4
	v_mul_lo_u32 v2, v2, 24
	v_mul_hi_u32 v7, v1, 24
	v_mul_lo_u32 v1, v1, 24
	v_add_u32_e32 v2, v7, v2
	s_waitcnt vmcnt(0)
	v_add_co_u32_e32 v1, vcc, v5, v1
	v_addc_co_u32_e32 v2, vcc, v6, v2, vcc
	global_load_dwordx2 v[1:2], v[1:2], off glc
	s_waitcnt vmcnt(0)
	global_atomic_cmpswap_x2 v[5:6], v0, v[1:4], s[36:37] offset:24 glc
	s_waitcnt vmcnt(0)
	buffer_wbinvl1_vol
	v_cmp_ne_u64_e32 vcc, v[5:6], v[3:4]
	s_and_saveexec_b64 s[16:17], vcc
	s_cbranch_execz .LBB3_1323
; %bb.1320:
	s_mov_b64 s[18:19], 0
.LBB3_1321:                             ; =>This Inner Loop Header: Depth=1
	s_sleep 1
	global_load_dwordx2 v[1:2], v0, s[36:37] offset:40
	global_load_dwordx2 v[7:8], v0, s[36:37]
	v_mov_b32_e32 v3, v5
	v_mov_b32_e32 v4, v6
	s_waitcnt vmcnt(1)
	v_and_b32_e32 v1, v1, v3
	s_waitcnt vmcnt(0)
	v_mad_u64_u32 v[5:6], s[20:21], v1, 24, v[7:8]
	v_and_b32_e32 v2, v2, v4
	v_mov_b32_e32 v1, v6
	v_mad_u64_u32 v[1:2], s[20:21], v2, 24, v[1:2]
	v_mov_b32_e32 v6, v1
	global_load_dwordx2 v[1:2], v[5:6], off glc
	s_waitcnt vmcnt(0)
	global_atomic_cmpswap_x2 v[5:6], v0, v[1:4], s[36:37] offset:24 glc
	s_waitcnt vmcnt(0)
	buffer_wbinvl1_vol
	v_cmp_eq_u64_e32 vcc, v[5:6], v[3:4]
	s_or_b64 s[18:19], vcc, s[18:19]
	s_andn2_b64 exec, exec, s[18:19]
	s_cbranch_execnz .LBB3_1321
; %bb.1322:
	s_or_b64 exec, exec, s[18:19]
.LBB3_1323:
	s_or_b64 exec, exec, s[16:17]
.LBB3_1324:
	s_or_b64 exec, exec, s[10:11]
	v_mov_b32_e32 v4, 0
	global_load_dwordx2 v[7:8], v4, s[36:37] offset:40
	global_load_dwordx4 v[0:3], v4, s[36:37]
	v_readfirstlane_b32 s10, v5
	v_readfirstlane_b32 s11, v6
	s_mov_b64 s[16:17], exec
	s_waitcnt vmcnt(1)
	v_readfirstlane_b32 s18, v7
	v_readfirstlane_b32 s19, v8
	s_and_b64 s[18:19], s[10:11], s[18:19]
	s_mul_i32 s15, s19, 24
	s_mul_hi_u32 s20, s18, 24
	s_mul_i32 s21, s18, 24
	s_add_i32 s15, s20, s15
	v_mov_b32_e32 v5, s15
	s_waitcnt vmcnt(0)
	v_add_co_u32_e32 v7, vcc, s21, v0
	v_addc_co_u32_e32 v8, vcc, v1, v5, vcc
	s_and_saveexec_b64 s[20:21], s[4:5]
	s_cbranch_execz .LBB3_1326
; %bb.1325:
	v_mov_b32_e32 v9, s16
	v_mov_b32_e32 v10, s17
	v_mov_b32_e32 v11, 2
	v_mov_b32_e32 v12, 1
	global_store_dwordx4 v[7:8], v[9:12], off offset:8
.LBB3_1326:
	s_or_b64 exec, exec, s[20:21]
	s_lshl_b64 s[16:17], s[18:19], 12
	v_mov_b32_e32 v5, s17
	v_add_co_u32_e32 v2, vcc, s16, v2
	v_addc_co_u32_e32 v11, vcc, v3, v5, vcc
	s_mov_b32 s16, 0
	v_mov_b32_e32 v3, 33
	v_mov_b32_e32 v5, v4
	;; [unrolled: 1-line block ×3, first 2 shown]
	v_readfirstlane_b32 s20, v2
	v_readfirstlane_b32 s21, v11
	v_add_co_u32_e32 v9, vcc, v2, v39
	s_mov_b32 s17, s16
	s_mov_b32 s18, s16
	;; [unrolled: 1-line block ×3, first 2 shown]
	s_nop 0
	global_store_dwordx4 v39, v[3:6], s[20:21]
	v_mov_b32_e32 v2, s16
	v_addc_co_u32_e32 v10, vcc, 0, v11, vcc
	v_mov_b32_e32 v3, s17
	v_mov_b32_e32 v4, s18
	;; [unrolled: 1-line block ×3, first 2 shown]
	global_store_dwordx4 v39, v[2:5], s[20:21] offset:16
	global_store_dwordx4 v39, v[2:5], s[20:21] offset:32
	;; [unrolled: 1-line block ×3, first 2 shown]
	s_and_saveexec_b64 s[16:17], s[4:5]
	s_cbranch_execz .LBB3_1334
; %bb.1327:
	v_mov_b32_e32 v6, 0
	global_load_dwordx2 v[13:14], v6, s[36:37] offset:32 glc
	global_load_dwordx2 v[2:3], v6, s[36:37] offset:40
	v_mov_b32_e32 v11, s10
	v_mov_b32_e32 v12, s11
	s_waitcnt vmcnt(0)
	v_readfirstlane_b32 s18, v2
	v_readfirstlane_b32 s19, v3
	s_and_b64 s[18:19], s[18:19], s[10:11]
	s_mul_i32 s15, s19, 24
	s_mul_hi_u32 s19, s18, 24
	s_mul_i32 s18, s18, 24
	s_add_i32 s15, s19, s15
	v_mov_b32_e32 v2, s15
	v_add_co_u32_e32 v4, vcc, s18, v0
	v_addc_co_u32_e32 v5, vcc, v1, v2, vcc
	global_store_dwordx2 v[4:5], v[13:14], off
	s_waitcnt vmcnt(0)
	global_atomic_cmpswap_x2 v[2:3], v6, v[11:14], s[36:37] offset:32 glc
	s_waitcnt vmcnt(0)
	v_cmp_ne_u64_e32 vcc, v[2:3], v[13:14]
	s_and_saveexec_b64 s[18:19], vcc
	s_cbranch_execz .LBB3_1330
; %bb.1328:
	s_mov_b64 s[20:21], 0
.LBB3_1329:                             ; =>This Inner Loop Header: Depth=1
	s_sleep 1
	global_store_dwordx2 v[4:5], v[2:3], off
	v_mov_b32_e32 v0, s10
	v_mov_b32_e32 v1, s11
	s_waitcnt vmcnt(0)
	global_atomic_cmpswap_x2 v[0:1], v6, v[0:3], s[36:37] offset:32 glc
	s_waitcnt vmcnt(0)
	v_cmp_eq_u64_e32 vcc, v[0:1], v[2:3]
	v_mov_b32_e32 v3, v1
	s_or_b64 s[20:21], vcc, s[20:21]
	v_mov_b32_e32 v2, v0
	s_andn2_b64 exec, exec, s[20:21]
	s_cbranch_execnz .LBB3_1329
.LBB3_1330:
	s_or_b64 exec, exec, s[18:19]
	v_mov_b32_e32 v3, 0
	global_load_dwordx2 v[0:1], v3, s[36:37] offset:16
	s_mov_b64 s[18:19], exec
	v_mbcnt_lo_u32_b32 v2, s18, 0
	v_mbcnt_hi_u32_b32 v2, s19, v2
	v_cmp_eq_u32_e32 vcc, 0, v2
	s_and_saveexec_b64 s[20:21], vcc
	s_cbranch_execz .LBB3_1332
; %bb.1331:
	s_bcnt1_i32_b64 s15, s[18:19]
	v_mov_b32_e32 v2, s15
	s_waitcnt vmcnt(0)
	global_atomic_add_x2 v[0:1], v[2:3], off offset:8
.LBB3_1332:
	s_or_b64 exec, exec, s[20:21]
	s_waitcnt vmcnt(0)
	global_load_dwordx2 v[2:3], v[0:1], off offset:16
	s_waitcnt vmcnt(0)
	v_cmp_eq_u64_e32 vcc, 0, v[2:3]
	s_cbranch_vccnz .LBB3_1334
; %bb.1333:
	global_load_dword v0, v[0:1], off offset:24
	v_mov_b32_e32 v1, 0
	s_waitcnt vmcnt(0)
	global_store_dwordx2 v[2:3], v[0:1], off
	v_and_b32_e32 v0, 0xffffff, v0
	v_readfirstlane_b32 m0, v0
	s_sendmsg sendmsg(MSG_INTERRUPT)
.LBB3_1334:
	s_or_b64 exec, exec, s[16:17]
	s_branch .LBB3_1338
.LBB3_1335:                             ;   in Loop: Header=BB3_1338 Depth=1
	s_or_b64 exec, exec, s[16:17]
	v_readfirstlane_b32 s15, v0
	s_cmp_eq_u32 s15, 0
	s_cbranch_scc1 .LBB3_1337
; %bb.1336:                             ;   in Loop: Header=BB3_1338 Depth=1
	s_sleep 1
	s_cbranch_execnz .LBB3_1338
	s_branch .LBB3_1340
.LBB3_1337:
	s_branch .LBB3_1340
.LBB3_1338:                             ; =>This Inner Loop Header: Depth=1
	v_mov_b32_e32 v0, 1
	s_and_saveexec_b64 s[16:17], s[4:5]
	s_cbranch_execz .LBB3_1335
; %bb.1339:                             ;   in Loop: Header=BB3_1338 Depth=1
	global_load_dword v0, v[7:8], off offset:20 glc
	s_waitcnt vmcnt(0)
	buffer_wbinvl1_vol
	v_and_b32_e32 v0, 1, v0
	s_branch .LBB3_1335
.LBB3_1340:
	global_load_dwordx2 v[4:5], v[9:10], off
	s_and_saveexec_b64 s[16:17], s[4:5]
	s_cbranch_execz .LBB3_1343
; %bb.1341:
	v_mov_b32_e32 v8, 0
	global_load_dwordx2 v[2:3], v8, s[36:37] offset:40
	global_load_dwordx2 v[9:10], v8, s[36:37] offset:24 glc
	global_load_dwordx2 v[6:7], v8, s[36:37]
	v_mov_b32_e32 v1, s11
	s_mov_b64 s[4:5], 0
	s_waitcnt vmcnt(2)
	v_add_co_u32_e32 v11, vcc, 1, v2
	v_addc_co_u32_e32 v12, vcc, 0, v3, vcc
	v_add_co_u32_e32 v0, vcc, s10, v11
	v_addc_co_u32_e32 v1, vcc, v12, v1, vcc
	v_cmp_eq_u64_e32 vcc, 0, v[0:1]
	v_cndmask_b32_e32 v1, v1, v12, vcc
	v_cndmask_b32_e32 v0, v0, v11, vcc
	v_and_b32_e32 v3, v1, v3
	v_and_b32_e32 v2, v0, v2
	v_mul_lo_u32 v3, v3, 24
	v_mul_hi_u32 v11, v2, 24
	v_mul_lo_u32 v12, v2, 24
	s_waitcnt vmcnt(1)
	v_mov_b32_e32 v2, v9
	v_add_u32_e32 v3, v11, v3
	s_waitcnt vmcnt(0)
	v_add_co_u32_e32 v6, vcc, v6, v12
	v_addc_co_u32_e32 v7, vcc, v7, v3, vcc
	global_store_dwordx2 v[6:7], v[9:10], off
	v_mov_b32_e32 v3, v10
	s_waitcnt vmcnt(0)
	global_atomic_cmpswap_x2 v[2:3], v8, v[0:3], s[36:37] offset:24 glc
	s_waitcnt vmcnt(0)
	v_cmp_ne_u64_e32 vcc, v[2:3], v[9:10]
	s_and_b64 exec, exec, vcc
	s_cbranch_execz .LBB3_1343
.LBB3_1342:                             ; =>This Inner Loop Header: Depth=1
	s_sleep 1
	global_store_dwordx2 v[6:7], v[2:3], off
	s_waitcnt vmcnt(0)
	global_atomic_cmpswap_x2 v[9:10], v8, v[0:3], s[36:37] offset:24 glc
	s_waitcnt vmcnt(0)
	v_cmp_eq_u64_e32 vcc, v[9:10], v[2:3]
	v_mov_b32_e32 v2, v9
	s_or_b64 s[4:5], vcc, s[4:5]
	v_mov_b32_e32 v3, v10
	s_andn2_b64 exec, exec, s[4:5]
	s_cbranch_execnz .LBB3_1342
.LBB3_1343:
	s_or_b64 exec, exec, s[16:17]
	s_and_b64 vcc, exec, s[6:7]
	s_cbranch_vccz .LBB3_1428
; %bb.1344:
	s_waitcnt vmcnt(0)
	v_and_b32_e32 v29, 2, v4
	v_mov_b32_e32 v26, 0
	v_and_b32_e32 v0, -3, v4
	v_mov_b32_e32 v1, v5
	s_mov_b64 s[10:11], 3
	v_mov_b32_e32 v8, 2
	v_mov_b32_e32 v9, 1
	s_getpc_b64 s[6:7]
	s_add_u32 s6, s6, .str.5@rel32@lo+4
	s_addc_u32 s7, s7, .str.5@rel32@hi+12
	s_branch .LBB3_1346
.LBB3_1345:                             ;   in Loop: Header=BB3_1346 Depth=1
	s_or_b64 exec, exec, s[20:21]
	s_sub_u32 s10, s10, s16
	s_subb_u32 s11, s11, s17
	s_add_u32 s6, s6, s16
	s_addc_u32 s7, s7, s17
	s_cmp_lg_u64 s[10:11], 0
	s_cbranch_scc0 .LBB3_1427
.LBB3_1346:                             ; =>This Loop Header: Depth=1
                                        ;     Child Loop BB3_1349 Depth 2
                                        ;     Child Loop BB3_1356 Depth 2
	;; [unrolled: 1-line block ×11, first 2 shown]
	v_cmp_lt_u64_e64 s[4:5], s[10:11], 56
	v_cmp_gt_u64_e64 s[18:19], s[10:11], 7
	s_and_b64 s[4:5], s[4:5], exec
	s_cselect_b32 s17, s11, 0
	s_cselect_b32 s16, s10, 56
	s_and_b64 vcc, exec, s[18:19]
	s_cbranch_vccnz .LBB3_1351
; %bb.1347:                             ;   in Loop: Header=BB3_1346 Depth=1
	s_waitcnt vmcnt(0)
	v_mov_b32_e32 v2, 0
	s_cmp_eq_u64 s[10:11], 0
	v_mov_b32_e32 v3, 0
	s_mov_b64 s[4:5], 0
	s_cbranch_scc1 .LBB3_1350
; %bb.1348:                             ;   in Loop: Header=BB3_1346 Depth=1
	v_mov_b32_e32 v2, 0
	s_lshl_b64 s[18:19], s[16:17], 3
	s_mov_b64 s[20:21], 0
	v_mov_b32_e32 v3, 0
	s_mov_b64 s[22:23], s[6:7]
.LBB3_1349:                             ;   Parent Loop BB3_1346 Depth=1
                                        ; =>  This Inner Loop Header: Depth=2
	global_load_ubyte v6, v26, s[22:23]
	s_waitcnt vmcnt(0)
	v_and_b32_e32 v25, 0xffff, v6
	v_lshlrev_b64 v[6:7], s20, v[25:26]
	s_add_u32 s20, s20, 8
	s_addc_u32 s21, s21, 0
	s_add_u32 s22, s22, 1
	s_addc_u32 s23, s23, 0
	v_or_b32_e32 v2, v6, v2
	s_cmp_lg_u32 s18, s20
	v_or_b32_e32 v3, v7, v3
	s_cbranch_scc1 .LBB3_1349
.LBB3_1350:                             ;   in Loop: Header=BB3_1346 Depth=1
	s_mov_b32 s15, 0
	s_andn2_b64 vcc, exec, s[4:5]
	s_mov_b64 s[4:5], s[6:7]
	s_cbranch_vccz .LBB3_1352
	s_branch .LBB3_1353
.LBB3_1351:                             ;   in Loop: Header=BB3_1346 Depth=1
                                        ; implicit-def: $vgpr2_vgpr3
                                        ; implicit-def: $sgpr15
	s_mov_b64 s[4:5], s[6:7]
.LBB3_1352:                             ;   in Loop: Header=BB3_1346 Depth=1
	global_load_dwordx2 v[2:3], v26, s[6:7]
	s_add_i32 s15, s16, -8
	s_add_u32 s4, s6, 8
	s_addc_u32 s5, s7, 0
.LBB3_1353:                             ;   in Loop: Header=BB3_1346 Depth=1
	s_cmp_gt_u32 s15, 7
	s_cbranch_scc1 .LBB3_1357
; %bb.1354:                             ;   in Loop: Header=BB3_1346 Depth=1
	s_cmp_eq_u32 s15, 0
	s_cbranch_scc1 .LBB3_1358
; %bb.1355:                             ;   in Loop: Header=BB3_1346 Depth=1
	v_mov_b32_e32 v10, 0
	s_mov_b64 s[18:19], 0
	v_mov_b32_e32 v11, 0
	s_mov_b64 s[20:21], 0
.LBB3_1356:                             ;   Parent Loop BB3_1346 Depth=1
                                        ; =>  This Inner Loop Header: Depth=2
	s_add_u32 s22, s4, s20
	s_addc_u32 s23, s5, s21
	global_load_ubyte v6, v26, s[22:23]
	s_add_u32 s20, s20, 1
	s_addc_u32 s21, s21, 0
	s_waitcnt vmcnt(0)
	v_and_b32_e32 v25, 0xffff, v6
	v_lshlrev_b64 v[6:7], s18, v[25:26]
	s_add_u32 s18, s18, 8
	s_addc_u32 s19, s19, 0
	v_or_b32_e32 v10, v6, v10
	s_cmp_lg_u32 s15, s20
	v_or_b32_e32 v11, v7, v11
	s_cbranch_scc1 .LBB3_1356
	s_branch .LBB3_1359
.LBB3_1357:                             ;   in Loop: Header=BB3_1346 Depth=1
                                        ; implicit-def: $vgpr10_vgpr11
                                        ; implicit-def: $sgpr22
	s_branch .LBB3_1360
.LBB3_1358:                             ;   in Loop: Header=BB3_1346 Depth=1
	v_mov_b32_e32 v10, 0
	v_mov_b32_e32 v11, 0
.LBB3_1359:                             ;   in Loop: Header=BB3_1346 Depth=1
	s_mov_b32 s22, 0
	s_cbranch_execnz .LBB3_1361
.LBB3_1360:                             ;   in Loop: Header=BB3_1346 Depth=1
	global_load_dwordx2 v[10:11], v26, s[4:5]
	s_add_i32 s22, s15, -8
	s_add_u32 s4, s4, 8
	s_addc_u32 s5, s5, 0
.LBB3_1361:                             ;   in Loop: Header=BB3_1346 Depth=1
	s_cmp_gt_u32 s22, 7
	s_cbranch_scc1 .LBB3_1365
; %bb.1362:                             ;   in Loop: Header=BB3_1346 Depth=1
	s_cmp_eq_u32 s22, 0
	s_cbranch_scc1 .LBB3_1366
; %bb.1363:                             ;   in Loop: Header=BB3_1346 Depth=1
	v_mov_b32_e32 v12, 0
	s_mov_b64 s[18:19], 0
	v_mov_b32_e32 v13, 0
	s_mov_b64 s[20:21], 0
.LBB3_1364:                             ;   Parent Loop BB3_1346 Depth=1
                                        ; =>  This Inner Loop Header: Depth=2
	s_add_u32 s24, s4, s20
	s_addc_u32 s25, s5, s21
	global_load_ubyte v6, v26, s[24:25]
	s_add_u32 s20, s20, 1
	s_addc_u32 s21, s21, 0
	s_waitcnt vmcnt(0)
	v_and_b32_e32 v25, 0xffff, v6
	v_lshlrev_b64 v[6:7], s18, v[25:26]
	s_add_u32 s18, s18, 8
	s_addc_u32 s19, s19, 0
	v_or_b32_e32 v12, v6, v12
	s_cmp_lg_u32 s22, s20
	v_or_b32_e32 v13, v7, v13
	s_cbranch_scc1 .LBB3_1364
	s_branch .LBB3_1367
.LBB3_1365:                             ;   in Loop: Header=BB3_1346 Depth=1
                                        ; implicit-def: $sgpr15
	s_branch .LBB3_1368
.LBB3_1366:                             ;   in Loop: Header=BB3_1346 Depth=1
	v_mov_b32_e32 v12, 0
	v_mov_b32_e32 v13, 0
.LBB3_1367:                             ;   in Loop: Header=BB3_1346 Depth=1
	s_mov_b32 s15, 0
	s_cbranch_execnz .LBB3_1369
.LBB3_1368:                             ;   in Loop: Header=BB3_1346 Depth=1
	global_load_dwordx2 v[12:13], v26, s[4:5]
	s_add_i32 s15, s22, -8
	s_add_u32 s4, s4, 8
	s_addc_u32 s5, s5, 0
.LBB3_1369:                             ;   in Loop: Header=BB3_1346 Depth=1
	s_cmp_gt_u32 s15, 7
	s_cbranch_scc1 .LBB3_1373
; %bb.1370:                             ;   in Loop: Header=BB3_1346 Depth=1
	s_cmp_eq_u32 s15, 0
	s_cbranch_scc1 .LBB3_1374
; %bb.1371:                             ;   in Loop: Header=BB3_1346 Depth=1
	v_mov_b32_e32 v14, 0
	s_mov_b64 s[18:19], 0
	v_mov_b32_e32 v15, 0
	s_mov_b64 s[20:21], 0
.LBB3_1372:                             ;   Parent Loop BB3_1346 Depth=1
                                        ; =>  This Inner Loop Header: Depth=2
	s_add_u32 s22, s4, s20
	s_addc_u32 s23, s5, s21
	global_load_ubyte v6, v26, s[22:23]
	s_add_u32 s20, s20, 1
	s_addc_u32 s21, s21, 0
	s_waitcnt vmcnt(0)
	v_and_b32_e32 v25, 0xffff, v6
	v_lshlrev_b64 v[6:7], s18, v[25:26]
	s_add_u32 s18, s18, 8
	s_addc_u32 s19, s19, 0
	v_or_b32_e32 v14, v6, v14
	s_cmp_lg_u32 s15, s20
	v_or_b32_e32 v15, v7, v15
	s_cbranch_scc1 .LBB3_1372
	s_branch .LBB3_1375
.LBB3_1373:                             ;   in Loop: Header=BB3_1346 Depth=1
                                        ; implicit-def: $vgpr14_vgpr15
                                        ; implicit-def: $sgpr22
	s_branch .LBB3_1376
.LBB3_1374:                             ;   in Loop: Header=BB3_1346 Depth=1
	v_mov_b32_e32 v14, 0
	v_mov_b32_e32 v15, 0
.LBB3_1375:                             ;   in Loop: Header=BB3_1346 Depth=1
	s_mov_b32 s22, 0
	s_cbranch_execnz .LBB3_1377
.LBB3_1376:                             ;   in Loop: Header=BB3_1346 Depth=1
	global_load_dwordx2 v[14:15], v26, s[4:5]
	s_add_i32 s22, s15, -8
	s_add_u32 s4, s4, 8
	s_addc_u32 s5, s5, 0
.LBB3_1377:                             ;   in Loop: Header=BB3_1346 Depth=1
	s_cmp_gt_u32 s22, 7
	s_cbranch_scc1 .LBB3_1381
; %bb.1378:                             ;   in Loop: Header=BB3_1346 Depth=1
	s_cmp_eq_u32 s22, 0
	s_cbranch_scc1 .LBB3_1382
; %bb.1379:                             ;   in Loop: Header=BB3_1346 Depth=1
	v_mov_b32_e32 v16, 0
	s_mov_b64 s[18:19], 0
	v_mov_b32_e32 v17, 0
	s_mov_b64 s[20:21], 0
.LBB3_1380:                             ;   Parent Loop BB3_1346 Depth=1
                                        ; =>  This Inner Loop Header: Depth=2
	s_add_u32 s24, s4, s20
	s_addc_u32 s25, s5, s21
	global_load_ubyte v6, v26, s[24:25]
	s_add_u32 s20, s20, 1
	s_addc_u32 s21, s21, 0
	s_waitcnt vmcnt(0)
	v_and_b32_e32 v25, 0xffff, v6
	v_lshlrev_b64 v[6:7], s18, v[25:26]
	s_add_u32 s18, s18, 8
	s_addc_u32 s19, s19, 0
	v_or_b32_e32 v16, v6, v16
	s_cmp_lg_u32 s22, s20
	v_or_b32_e32 v17, v7, v17
	s_cbranch_scc1 .LBB3_1380
	s_branch .LBB3_1383
.LBB3_1381:                             ;   in Loop: Header=BB3_1346 Depth=1
                                        ; implicit-def: $sgpr15
	s_branch .LBB3_1384
.LBB3_1382:                             ;   in Loop: Header=BB3_1346 Depth=1
	v_mov_b32_e32 v16, 0
	v_mov_b32_e32 v17, 0
.LBB3_1383:                             ;   in Loop: Header=BB3_1346 Depth=1
	s_mov_b32 s15, 0
	s_cbranch_execnz .LBB3_1385
.LBB3_1384:                             ;   in Loop: Header=BB3_1346 Depth=1
	global_load_dwordx2 v[16:17], v26, s[4:5]
	s_add_i32 s15, s22, -8
	s_add_u32 s4, s4, 8
	s_addc_u32 s5, s5, 0
.LBB3_1385:                             ;   in Loop: Header=BB3_1346 Depth=1
	s_cmp_gt_u32 s15, 7
	s_cbranch_scc1 .LBB3_1389
; %bb.1386:                             ;   in Loop: Header=BB3_1346 Depth=1
	s_cmp_eq_u32 s15, 0
	s_cbranch_scc1 .LBB3_1390
; %bb.1387:                             ;   in Loop: Header=BB3_1346 Depth=1
	v_mov_b32_e32 v18, 0
	s_mov_b64 s[18:19], 0
	v_mov_b32_e32 v19, 0
	s_mov_b64 s[20:21], 0
.LBB3_1388:                             ;   Parent Loop BB3_1346 Depth=1
                                        ; =>  This Inner Loop Header: Depth=2
	s_add_u32 s22, s4, s20
	s_addc_u32 s23, s5, s21
	global_load_ubyte v6, v26, s[22:23]
	s_add_u32 s20, s20, 1
	s_addc_u32 s21, s21, 0
	s_waitcnt vmcnt(0)
	v_and_b32_e32 v25, 0xffff, v6
	v_lshlrev_b64 v[6:7], s18, v[25:26]
	s_add_u32 s18, s18, 8
	s_addc_u32 s19, s19, 0
	v_or_b32_e32 v18, v6, v18
	s_cmp_lg_u32 s15, s20
	v_or_b32_e32 v19, v7, v19
	s_cbranch_scc1 .LBB3_1388
	s_branch .LBB3_1391
.LBB3_1389:                             ;   in Loop: Header=BB3_1346 Depth=1
                                        ; implicit-def: $vgpr18_vgpr19
                                        ; implicit-def: $sgpr22
	s_branch .LBB3_1392
.LBB3_1390:                             ;   in Loop: Header=BB3_1346 Depth=1
	v_mov_b32_e32 v18, 0
	v_mov_b32_e32 v19, 0
.LBB3_1391:                             ;   in Loop: Header=BB3_1346 Depth=1
	s_mov_b32 s22, 0
	s_cbranch_execnz .LBB3_1393
.LBB3_1392:                             ;   in Loop: Header=BB3_1346 Depth=1
	global_load_dwordx2 v[18:19], v26, s[4:5]
	s_add_i32 s22, s15, -8
	s_add_u32 s4, s4, 8
	s_addc_u32 s5, s5, 0
.LBB3_1393:                             ;   in Loop: Header=BB3_1346 Depth=1
	s_cmp_gt_u32 s22, 7
	s_cbranch_scc1 .LBB3_1397
; %bb.1394:                             ;   in Loop: Header=BB3_1346 Depth=1
	s_cmp_eq_u32 s22, 0
	s_cbranch_scc1 .LBB3_1398
; %bb.1395:                             ;   in Loop: Header=BB3_1346 Depth=1
	v_mov_b32_e32 v20, 0
	s_mov_b64 s[18:19], 0
	v_mov_b32_e32 v21, 0
	s_mov_b64 s[20:21], s[4:5]
.LBB3_1396:                             ;   Parent Loop BB3_1346 Depth=1
                                        ; =>  This Inner Loop Header: Depth=2
	global_load_ubyte v6, v26, s[20:21]
	s_add_i32 s22, s22, -1
	s_waitcnt vmcnt(0)
	v_and_b32_e32 v25, 0xffff, v6
	v_lshlrev_b64 v[6:7], s18, v[25:26]
	s_add_u32 s18, s18, 8
	s_addc_u32 s19, s19, 0
	s_add_u32 s20, s20, 1
	s_addc_u32 s21, s21, 0
	v_or_b32_e32 v20, v6, v20
	s_cmp_lg_u32 s22, 0
	v_or_b32_e32 v21, v7, v21
	s_cbranch_scc1 .LBB3_1396
	s_branch .LBB3_1399
.LBB3_1397:                             ;   in Loop: Header=BB3_1346 Depth=1
	s_branch .LBB3_1400
.LBB3_1398:                             ;   in Loop: Header=BB3_1346 Depth=1
	v_mov_b32_e32 v20, 0
	v_mov_b32_e32 v21, 0
.LBB3_1399:                             ;   in Loop: Header=BB3_1346 Depth=1
	s_cbranch_execnz .LBB3_1401
.LBB3_1400:                             ;   in Loop: Header=BB3_1346 Depth=1
	global_load_dwordx2 v[20:21], v26, s[4:5]
.LBB3_1401:                             ;   in Loop: Header=BB3_1346 Depth=1
	v_readfirstlane_b32 s4, v50
	v_mov_b32_e32 v6, 0
	v_mov_b32_e32 v7, 0
	v_cmp_eq_u32_e64 s[4:5], s4, v50
	s_and_saveexec_b64 s[18:19], s[4:5]
	s_cbranch_execz .LBB3_1407
; %bb.1402:                             ;   in Loop: Header=BB3_1346 Depth=1
	global_load_dwordx2 v[24:25], v26, s[36:37] offset:24 glc
	s_waitcnt vmcnt(0)
	buffer_wbinvl1_vol
	global_load_dwordx2 v[6:7], v26, s[36:37] offset:40
	global_load_dwordx2 v[22:23], v26, s[36:37]
	s_waitcnt vmcnt(1)
	v_and_b32_e32 v6, v6, v24
	v_and_b32_e32 v7, v7, v25
	v_mul_lo_u32 v7, v7, 24
	v_mul_hi_u32 v27, v6, 24
	v_mul_lo_u32 v6, v6, 24
	v_add_u32_e32 v7, v27, v7
	s_waitcnt vmcnt(0)
	v_add_co_u32_e32 v6, vcc, v22, v6
	v_addc_co_u32_e32 v7, vcc, v23, v7, vcc
	global_load_dwordx2 v[22:23], v[6:7], off glc
	s_waitcnt vmcnt(0)
	global_atomic_cmpswap_x2 v[6:7], v26, v[22:25], s[36:37] offset:24 glc
	s_waitcnt vmcnt(0)
	buffer_wbinvl1_vol
	v_cmp_ne_u64_e32 vcc, v[6:7], v[24:25]
	s_and_saveexec_b64 s[20:21], vcc
	s_cbranch_execz .LBB3_1406
; %bb.1403:                             ;   in Loop: Header=BB3_1346 Depth=1
	s_mov_b64 s[22:23], 0
.LBB3_1404:                             ;   Parent Loop BB3_1346 Depth=1
                                        ; =>  This Inner Loop Header: Depth=2
	s_sleep 1
	global_load_dwordx2 v[22:23], v26, s[36:37] offset:40
	global_load_dwordx2 v[27:28], v26, s[36:37]
	v_mov_b32_e32 v25, v7
	v_mov_b32_e32 v24, v6
	s_waitcnt vmcnt(1)
	v_and_b32_e32 v6, v22, v24
	s_waitcnt vmcnt(0)
	v_mad_u64_u32 v[6:7], s[24:25], v6, 24, v[27:28]
	v_and_b32_e32 v22, v23, v25
	v_mad_u64_u32 v[22:23], s[24:25], v22, 24, v[7:8]
	v_mov_b32_e32 v7, v22
	global_load_dwordx2 v[22:23], v[6:7], off glc
	s_waitcnt vmcnt(0)
	global_atomic_cmpswap_x2 v[6:7], v26, v[22:25], s[36:37] offset:24 glc
	s_waitcnt vmcnt(0)
	buffer_wbinvl1_vol
	v_cmp_eq_u64_e32 vcc, v[6:7], v[24:25]
	s_or_b64 s[22:23], vcc, s[22:23]
	s_andn2_b64 exec, exec, s[22:23]
	s_cbranch_execnz .LBB3_1404
; %bb.1405:                             ;   in Loop: Header=BB3_1346 Depth=1
	s_or_b64 exec, exec, s[22:23]
.LBB3_1406:                             ;   in Loop: Header=BB3_1346 Depth=1
	s_or_b64 exec, exec, s[20:21]
.LBB3_1407:                             ;   in Loop: Header=BB3_1346 Depth=1
	s_or_b64 exec, exec, s[18:19]
	global_load_dwordx2 v[27:28], v26, s[36:37] offset:40
	global_load_dwordx4 v[22:25], v26, s[36:37]
	v_readfirstlane_b32 s18, v6
	v_readfirstlane_b32 s19, v7
	s_mov_b64 s[20:21], exec
	s_waitcnt vmcnt(1)
	v_readfirstlane_b32 s22, v27
	v_readfirstlane_b32 s23, v28
	s_and_b64 s[22:23], s[18:19], s[22:23]
	s_mul_i32 s15, s23, 24
	s_mul_hi_u32 s24, s22, 24
	s_mul_i32 s25, s22, 24
	s_add_i32 s15, s24, s15
	v_mov_b32_e32 v6, s15
	s_waitcnt vmcnt(0)
	v_add_co_u32_e32 v27, vcc, s25, v22
	v_addc_co_u32_e32 v28, vcc, v23, v6, vcc
	s_and_saveexec_b64 s[24:25], s[4:5]
	s_cbranch_execz .LBB3_1409
; %bb.1408:                             ;   in Loop: Header=BB3_1346 Depth=1
	v_mov_b32_e32 v6, s20
	v_mov_b32_e32 v7, s21
	global_store_dwordx4 v[27:28], v[6:9], off offset:8
.LBB3_1409:                             ;   in Loop: Header=BB3_1346 Depth=1
	s_or_b64 exec, exec, s[24:25]
	s_lshl_b64 s[20:21], s[22:23], 12
	v_mov_b32_e32 v6, s21
	v_add_co_u32_e32 v24, vcc, s20, v24
	v_addc_co_u32_e32 v30, vcc, v25, v6, vcc
	v_cmp_gt_u64_e64 vcc, s[10:11], 56
	v_or_b32_e32 v7, v0, v29
	s_lshl_b32 s15, s16, 2
	v_cndmask_b32_e32 v0, v7, v0, vcc
	s_add_i32 s15, s15, 28
	v_or_b32_e32 v6, 0, v1
	s_and_b32 s15, s15, 0x1e0
	v_and_b32_e32 v0, 0xffffff1f, v0
	v_cndmask_b32_e32 v1, v6, v1, vcc
	v_or_b32_e32 v0, s15, v0
	v_readfirstlane_b32 s20, v24
	v_readfirstlane_b32 s21, v30
	s_nop 4
	global_store_dwordx4 v39, v[0:3], s[20:21]
	global_store_dwordx4 v39, v[10:13], s[20:21] offset:16
	global_store_dwordx4 v39, v[14:17], s[20:21] offset:32
	;; [unrolled: 1-line block ×3, first 2 shown]
	s_and_saveexec_b64 s[20:21], s[4:5]
	s_cbranch_execz .LBB3_1417
; %bb.1410:                             ;   in Loop: Header=BB3_1346 Depth=1
	global_load_dwordx2 v[12:13], v26, s[36:37] offset:32 glc
	global_load_dwordx2 v[0:1], v26, s[36:37] offset:40
	v_mov_b32_e32 v10, s18
	v_mov_b32_e32 v11, s19
	s_waitcnt vmcnt(0)
	v_readfirstlane_b32 s22, v0
	v_readfirstlane_b32 s23, v1
	s_and_b64 s[22:23], s[22:23], s[18:19]
	s_mul_i32 s15, s23, 24
	s_mul_hi_u32 s23, s22, 24
	s_mul_i32 s22, s22, 24
	s_add_i32 s15, s23, s15
	v_mov_b32_e32 v0, s15
	v_add_co_u32_e32 v6, vcc, s22, v22
	v_addc_co_u32_e32 v7, vcc, v23, v0, vcc
	global_store_dwordx2 v[6:7], v[12:13], off
	s_waitcnt vmcnt(0)
	global_atomic_cmpswap_x2 v[2:3], v26, v[10:13], s[36:37] offset:32 glc
	s_waitcnt vmcnt(0)
	v_cmp_ne_u64_e32 vcc, v[2:3], v[12:13]
	s_and_saveexec_b64 s[22:23], vcc
	s_cbranch_execz .LBB3_1413
; %bb.1411:                             ;   in Loop: Header=BB3_1346 Depth=1
	s_mov_b64 s[24:25], 0
.LBB3_1412:                             ;   Parent Loop BB3_1346 Depth=1
                                        ; =>  This Inner Loop Header: Depth=2
	s_sleep 1
	global_store_dwordx2 v[6:7], v[2:3], off
	v_mov_b32_e32 v0, s18
	v_mov_b32_e32 v1, s19
	s_waitcnt vmcnt(0)
	global_atomic_cmpswap_x2 v[0:1], v26, v[0:3], s[36:37] offset:32 glc
	s_waitcnt vmcnt(0)
	v_cmp_eq_u64_e32 vcc, v[0:1], v[2:3]
	v_mov_b32_e32 v3, v1
	s_or_b64 s[24:25], vcc, s[24:25]
	v_mov_b32_e32 v2, v0
	s_andn2_b64 exec, exec, s[24:25]
	s_cbranch_execnz .LBB3_1412
.LBB3_1413:                             ;   in Loop: Header=BB3_1346 Depth=1
	s_or_b64 exec, exec, s[22:23]
	global_load_dwordx2 v[0:1], v26, s[36:37] offset:16
	s_mov_b64 s[24:25], exec
	v_mbcnt_lo_u32_b32 v2, s24, 0
	v_mbcnt_hi_u32_b32 v2, s25, v2
	v_cmp_eq_u32_e32 vcc, 0, v2
	s_and_saveexec_b64 s[22:23], vcc
	s_cbranch_execz .LBB3_1415
; %bb.1414:                             ;   in Loop: Header=BB3_1346 Depth=1
	s_bcnt1_i32_b64 s15, s[24:25]
	v_mov_b32_e32 v25, s15
	s_waitcnt vmcnt(0)
	global_atomic_add_x2 v[0:1], v[25:26], off offset:8
.LBB3_1415:                             ;   in Loop: Header=BB3_1346 Depth=1
	s_or_b64 exec, exec, s[22:23]
	s_waitcnt vmcnt(0)
	global_load_dwordx2 v[2:3], v[0:1], off offset:16
	s_waitcnt vmcnt(0)
	v_cmp_eq_u64_e32 vcc, 0, v[2:3]
	s_cbranch_vccnz .LBB3_1417
; %bb.1416:                             ;   in Loop: Header=BB3_1346 Depth=1
	global_load_dword v25, v[0:1], off offset:24
	s_waitcnt vmcnt(0)
	v_and_b32_e32 v0, 0xffffff, v25
	v_readfirstlane_b32 m0, v0
	global_store_dwordx2 v[2:3], v[25:26], off
	s_sendmsg sendmsg(MSG_INTERRUPT)
.LBB3_1417:                             ;   in Loop: Header=BB3_1346 Depth=1
	s_or_b64 exec, exec, s[20:21]
	v_add_co_u32_e32 v0, vcc, v24, v39
	v_addc_co_u32_e32 v1, vcc, 0, v30, vcc
	s_branch .LBB3_1421
.LBB3_1418:                             ;   in Loop: Header=BB3_1421 Depth=2
	s_or_b64 exec, exec, s[20:21]
	v_readfirstlane_b32 s15, v2
	s_cmp_eq_u32 s15, 0
	s_cbranch_scc1 .LBB3_1420
; %bb.1419:                             ;   in Loop: Header=BB3_1421 Depth=2
	s_sleep 1
	s_cbranch_execnz .LBB3_1421
	s_branch .LBB3_1423
.LBB3_1420:                             ;   in Loop: Header=BB3_1346 Depth=1
	s_branch .LBB3_1423
.LBB3_1421:                             ;   Parent Loop BB3_1346 Depth=1
                                        ; =>  This Inner Loop Header: Depth=2
	v_mov_b32_e32 v2, 1
	s_and_saveexec_b64 s[20:21], s[4:5]
	s_cbranch_execz .LBB3_1418
; %bb.1422:                             ;   in Loop: Header=BB3_1421 Depth=2
	global_load_dword v2, v[27:28], off offset:20 glc
	s_waitcnt vmcnt(0)
	buffer_wbinvl1_vol
	v_and_b32_e32 v2, 1, v2
	s_branch .LBB3_1418
.LBB3_1423:                             ;   in Loop: Header=BB3_1346 Depth=1
	global_load_dwordx4 v[0:3], v[0:1], off
	s_and_saveexec_b64 s[20:21], s[4:5]
	s_cbranch_execz .LBB3_1345
; %bb.1424:                             ;   in Loop: Header=BB3_1346 Depth=1
	global_load_dwordx2 v[2:3], v26, s[36:37] offset:40
	global_load_dwordx2 v[6:7], v26, s[36:37] offset:24 glc
	global_load_dwordx2 v[13:14], v26, s[36:37]
	v_mov_b32_e32 v11, s19
	s_waitcnt vmcnt(2)
	v_add_co_u32_e32 v12, vcc, 1, v2
	v_addc_co_u32_e32 v15, vcc, 0, v3, vcc
	v_add_co_u32_e32 v10, vcc, s18, v12
	v_addc_co_u32_e32 v11, vcc, v15, v11, vcc
	v_cmp_eq_u64_e32 vcc, 0, v[10:11]
	v_cndmask_b32_e32 v11, v11, v15, vcc
	v_cndmask_b32_e32 v10, v10, v12, vcc
	v_and_b32_e32 v3, v11, v3
	v_and_b32_e32 v2, v10, v2
	v_mul_lo_u32 v3, v3, 24
	v_mul_hi_u32 v15, v2, 24
	v_mul_lo_u32 v2, v2, 24
	s_waitcnt vmcnt(1)
	v_mov_b32_e32 v12, v6
	v_add_u32_e32 v3, v15, v3
	s_waitcnt vmcnt(0)
	v_add_co_u32_e32 v2, vcc, v13, v2
	v_addc_co_u32_e32 v3, vcc, v14, v3, vcc
	global_store_dwordx2 v[2:3], v[6:7], off
	v_mov_b32_e32 v13, v7
	s_waitcnt vmcnt(0)
	global_atomic_cmpswap_x2 v[12:13], v26, v[10:13], s[36:37] offset:24 glc
	s_waitcnt vmcnt(0)
	v_cmp_ne_u64_e32 vcc, v[12:13], v[6:7]
	s_and_b64 exec, exec, vcc
	s_cbranch_execz .LBB3_1345
; %bb.1425:                             ;   in Loop: Header=BB3_1346 Depth=1
	s_mov_b64 s[4:5], 0
.LBB3_1426:                             ;   Parent Loop BB3_1346 Depth=1
                                        ; =>  This Inner Loop Header: Depth=2
	s_sleep 1
	global_store_dwordx2 v[2:3], v[12:13], off
	s_waitcnt vmcnt(0)
	global_atomic_cmpswap_x2 v[6:7], v26, v[10:13], s[36:37] offset:24 glc
	s_waitcnt vmcnt(0)
	v_cmp_eq_u64_e32 vcc, v[6:7], v[12:13]
	v_mov_b32_e32 v13, v7
	s_or_b64 s[4:5], vcc, s[4:5]
	v_mov_b32_e32 v12, v6
	s_andn2_b64 exec, exec, s[4:5]
	s_cbranch_execnz .LBB3_1426
	s_branch .LBB3_1345
.LBB3_1427:
	s_branch .LBB3_1455
.LBB3_1428:
                                        ; implicit-def: $vgpr0_vgpr1
	s_cbranch_execz .LBB3_1455
; %bb.1429:
	v_readfirstlane_b32 s4, v50
	v_mov_b32_e32 v7, 0
	v_mov_b32_e32 v8, 0
	v_cmp_eq_u32_e64 s[4:5], s4, v50
	s_and_saveexec_b64 s[6:7], s[4:5]
	s_cbranch_execz .LBB3_1435
; %bb.1430:
	s_waitcnt vmcnt(0)
	v_mov_b32_e32 v0, 0
	global_load_dwordx2 v[9:10], v0, s[36:37] offset:24 glc
	s_waitcnt vmcnt(0)
	buffer_wbinvl1_vol
	global_load_dwordx2 v[1:2], v0, s[36:37] offset:40
	global_load_dwordx2 v[6:7], v0, s[36:37]
	s_waitcnt vmcnt(1)
	v_and_b32_e32 v1, v1, v9
	v_and_b32_e32 v2, v2, v10
	v_mul_lo_u32 v2, v2, 24
	v_mul_hi_u32 v3, v1, 24
	v_mul_lo_u32 v1, v1, 24
	v_add_u32_e32 v2, v3, v2
	s_waitcnt vmcnt(0)
	v_add_co_u32_e32 v1, vcc, v6, v1
	v_addc_co_u32_e32 v2, vcc, v7, v2, vcc
	global_load_dwordx2 v[7:8], v[1:2], off glc
	s_waitcnt vmcnt(0)
	global_atomic_cmpswap_x2 v[7:8], v0, v[7:10], s[36:37] offset:24 glc
	s_waitcnt vmcnt(0)
	buffer_wbinvl1_vol
	v_cmp_ne_u64_e32 vcc, v[7:8], v[9:10]
	s_and_saveexec_b64 s[10:11], vcc
	s_cbranch_execz .LBB3_1434
; %bb.1431:
	s_mov_b64 s[16:17], 0
.LBB3_1432:                             ; =>This Inner Loop Header: Depth=1
	s_sleep 1
	global_load_dwordx2 v[1:2], v0, s[36:37] offset:40
	global_load_dwordx2 v[11:12], v0, s[36:37]
	v_mov_b32_e32 v10, v8
	v_mov_b32_e32 v9, v7
	s_waitcnt vmcnt(1)
	v_and_b32_e32 v1, v1, v9
	s_waitcnt vmcnt(0)
	v_mad_u64_u32 v[6:7], s[18:19], v1, 24, v[11:12]
	v_and_b32_e32 v2, v2, v10
	v_mov_b32_e32 v1, v7
	v_mad_u64_u32 v[1:2], s[18:19], v2, 24, v[1:2]
	v_mov_b32_e32 v7, v1
	global_load_dwordx2 v[7:8], v[6:7], off glc
	s_waitcnt vmcnt(0)
	global_atomic_cmpswap_x2 v[7:8], v0, v[7:10], s[36:37] offset:24 glc
	s_waitcnt vmcnt(0)
	buffer_wbinvl1_vol
	v_cmp_eq_u64_e32 vcc, v[7:8], v[9:10]
	s_or_b64 s[16:17], vcc, s[16:17]
	s_andn2_b64 exec, exec, s[16:17]
	s_cbranch_execnz .LBB3_1432
; %bb.1433:
	s_or_b64 exec, exec, s[16:17]
.LBB3_1434:
	s_or_b64 exec, exec, s[10:11]
.LBB3_1435:
	s_or_b64 exec, exec, s[6:7]
	v_mov_b32_e32 v6, 0
	global_load_dwordx2 v[9:10], v6, s[36:37] offset:40
	global_load_dwordx4 v[0:3], v6, s[36:37]
	v_readfirstlane_b32 s6, v7
	v_readfirstlane_b32 s7, v8
	s_mov_b64 s[10:11], exec
	s_waitcnt vmcnt(1)
	v_readfirstlane_b32 s16, v9
	v_readfirstlane_b32 s17, v10
	s_and_b64 s[16:17], s[6:7], s[16:17]
	s_mul_i32 s15, s17, 24
	s_mul_hi_u32 s18, s16, 24
	s_mul_i32 s19, s16, 24
	s_add_i32 s15, s18, s15
	v_mov_b32_e32 v7, s15
	s_waitcnt vmcnt(0)
	v_add_co_u32_e32 v8, vcc, s19, v0
	v_addc_co_u32_e32 v9, vcc, v1, v7, vcc
	s_and_saveexec_b64 s[18:19], s[4:5]
	s_cbranch_execz .LBB3_1437
; %bb.1436:
	v_mov_b32_e32 v10, s10
	v_mov_b32_e32 v11, s11
	;; [unrolled: 1-line block ×4, first 2 shown]
	global_store_dwordx4 v[8:9], v[10:13], off offset:8
.LBB3_1437:
	s_or_b64 exec, exec, s[18:19]
	s_lshl_b64 s[10:11], s[16:17], 12
	v_mov_b32_e32 v7, s11
	v_add_co_u32_e32 v2, vcc, s10, v2
	v_addc_co_u32_e32 v3, vcc, v3, v7, vcc
	s_movk_i32 s10, 0xff1f
	v_and_or_b32 v4, v4, s10, 32
	v_add_co_u32_e32 v10, vcc, v2, v39
	s_mov_b32 s16, 0
	v_mov_b32_e32 v7, v6
	v_readfirstlane_b32 s10, v2
	v_readfirstlane_b32 s11, v3
	v_addc_co_u32_e32 v11, vcc, 0, v3, vcc
	s_mov_b32 s17, s16
	s_mov_b32 s18, s16
	;; [unrolled: 1-line block ×3, first 2 shown]
	s_nop 0
	global_store_dwordx4 v39, v[4:7], s[10:11]
	v_mov_b32_e32 v2, s16
	v_mov_b32_e32 v3, s17
	;; [unrolled: 1-line block ×4, first 2 shown]
	global_store_dwordx4 v39, v[2:5], s[10:11] offset:16
	global_store_dwordx4 v39, v[2:5], s[10:11] offset:32
	;; [unrolled: 1-line block ×3, first 2 shown]
	s_and_saveexec_b64 s[10:11], s[4:5]
	s_cbranch_execz .LBB3_1445
; %bb.1438:
	v_mov_b32_e32 v6, 0
	global_load_dwordx2 v[14:15], v6, s[36:37] offset:32 glc
	global_load_dwordx2 v[2:3], v6, s[36:37] offset:40
	v_mov_b32_e32 v12, s6
	v_mov_b32_e32 v13, s7
	s_waitcnt vmcnt(0)
	v_readfirstlane_b32 s16, v2
	v_readfirstlane_b32 s17, v3
	s_and_b64 s[16:17], s[16:17], s[6:7]
	s_mul_i32 s15, s17, 24
	s_mul_hi_u32 s17, s16, 24
	s_mul_i32 s16, s16, 24
	s_add_i32 s15, s17, s15
	v_mov_b32_e32 v2, s15
	v_add_co_u32_e32 v4, vcc, s16, v0
	v_addc_co_u32_e32 v5, vcc, v1, v2, vcc
	global_store_dwordx2 v[4:5], v[14:15], off
	s_waitcnt vmcnt(0)
	global_atomic_cmpswap_x2 v[2:3], v6, v[12:15], s[36:37] offset:32 glc
	s_waitcnt vmcnt(0)
	v_cmp_ne_u64_e32 vcc, v[2:3], v[14:15]
	s_and_saveexec_b64 s[16:17], vcc
	s_cbranch_execz .LBB3_1441
; %bb.1439:
	s_mov_b64 s[18:19], 0
.LBB3_1440:                             ; =>This Inner Loop Header: Depth=1
	s_sleep 1
	global_store_dwordx2 v[4:5], v[2:3], off
	v_mov_b32_e32 v0, s6
	v_mov_b32_e32 v1, s7
	s_waitcnt vmcnt(0)
	global_atomic_cmpswap_x2 v[0:1], v6, v[0:3], s[36:37] offset:32 glc
	s_waitcnt vmcnt(0)
	v_cmp_eq_u64_e32 vcc, v[0:1], v[2:3]
	v_mov_b32_e32 v3, v1
	s_or_b64 s[18:19], vcc, s[18:19]
	v_mov_b32_e32 v2, v0
	s_andn2_b64 exec, exec, s[18:19]
	s_cbranch_execnz .LBB3_1440
.LBB3_1441:
	s_or_b64 exec, exec, s[16:17]
	v_mov_b32_e32 v3, 0
	global_load_dwordx2 v[0:1], v3, s[36:37] offset:16
	s_mov_b64 s[16:17], exec
	v_mbcnt_lo_u32_b32 v2, s16, 0
	v_mbcnt_hi_u32_b32 v2, s17, v2
	v_cmp_eq_u32_e32 vcc, 0, v2
	s_and_saveexec_b64 s[18:19], vcc
	s_cbranch_execz .LBB3_1443
; %bb.1442:
	s_bcnt1_i32_b64 s15, s[16:17]
	v_mov_b32_e32 v2, s15
	s_waitcnt vmcnt(0)
	global_atomic_add_x2 v[0:1], v[2:3], off offset:8
.LBB3_1443:
	s_or_b64 exec, exec, s[18:19]
	s_waitcnt vmcnt(0)
	global_load_dwordx2 v[2:3], v[0:1], off offset:16
	s_waitcnt vmcnt(0)
	v_cmp_eq_u64_e32 vcc, 0, v[2:3]
	s_cbranch_vccnz .LBB3_1445
; %bb.1444:
	global_load_dword v0, v[0:1], off offset:24
	v_mov_b32_e32 v1, 0
	s_waitcnt vmcnt(0)
	global_store_dwordx2 v[2:3], v[0:1], off
	v_and_b32_e32 v0, 0xffffff, v0
	v_readfirstlane_b32 m0, v0
	s_sendmsg sendmsg(MSG_INTERRUPT)
.LBB3_1445:
	s_or_b64 exec, exec, s[10:11]
	s_branch .LBB3_1449
.LBB3_1446:                             ;   in Loop: Header=BB3_1449 Depth=1
	s_or_b64 exec, exec, s[10:11]
	v_readfirstlane_b32 s10, v0
	s_cmp_eq_u32 s10, 0
	s_cbranch_scc1 .LBB3_1448
; %bb.1447:                             ;   in Loop: Header=BB3_1449 Depth=1
	s_sleep 1
	s_cbranch_execnz .LBB3_1449
	s_branch .LBB3_1451
.LBB3_1448:
	s_branch .LBB3_1451
.LBB3_1449:                             ; =>This Inner Loop Header: Depth=1
	v_mov_b32_e32 v0, 1
	s_and_saveexec_b64 s[10:11], s[4:5]
	s_cbranch_execz .LBB3_1446
; %bb.1450:                             ;   in Loop: Header=BB3_1449 Depth=1
	global_load_dword v0, v[8:9], off offset:20 glc
	s_waitcnt vmcnt(0)
	buffer_wbinvl1_vol
	v_and_b32_e32 v0, 1, v0
	s_branch .LBB3_1446
.LBB3_1451:
	global_load_dwordx2 v[0:1], v[10:11], off
	s_and_saveexec_b64 s[10:11], s[4:5]
	s_cbranch_execz .LBB3_1454
; %bb.1452:
	v_mov_b32_e32 v8, 0
	global_load_dwordx2 v[4:5], v8, s[36:37] offset:40
	global_load_dwordx2 v[9:10], v8, s[36:37] offset:24 glc
	global_load_dwordx2 v[6:7], v8, s[36:37]
	v_mov_b32_e32 v3, s7
	s_mov_b64 s[4:5], 0
	s_waitcnt vmcnt(2)
	v_add_co_u32_e32 v11, vcc, 1, v4
	v_addc_co_u32_e32 v12, vcc, 0, v5, vcc
	v_add_co_u32_e32 v2, vcc, s6, v11
	v_addc_co_u32_e32 v3, vcc, v12, v3, vcc
	v_cmp_eq_u64_e32 vcc, 0, v[2:3]
	v_cndmask_b32_e32 v3, v3, v12, vcc
	v_cndmask_b32_e32 v2, v2, v11, vcc
	v_and_b32_e32 v5, v3, v5
	v_and_b32_e32 v4, v2, v4
	v_mul_lo_u32 v5, v5, 24
	v_mul_hi_u32 v11, v4, 24
	v_mul_lo_u32 v12, v4, 24
	s_waitcnt vmcnt(1)
	v_mov_b32_e32 v4, v9
	v_add_u32_e32 v5, v11, v5
	s_waitcnt vmcnt(0)
	v_add_co_u32_e32 v6, vcc, v6, v12
	v_addc_co_u32_e32 v7, vcc, v7, v5, vcc
	global_store_dwordx2 v[6:7], v[9:10], off
	v_mov_b32_e32 v5, v10
	s_waitcnt vmcnt(0)
	global_atomic_cmpswap_x2 v[4:5], v8, v[2:5], s[36:37] offset:24 glc
	s_waitcnt vmcnt(0)
	v_cmp_ne_u64_e32 vcc, v[4:5], v[9:10]
	s_and_b64 exec, exec, vcc
	s_cbranch_execz .LBB3_1454
.LBB3_1453:                             ; =>This Inner Loop Header: Depth=1
	s_sleep 1
	global_store_dwordx2 v[6:7], v[4:5], off
	s_waitcnt vmcnt(0)
	global_atomic_cmpswap_x2 v[9:10], v8, v[2:5], s[36:37] offset:24 glc
	s_waitcnt vmcnt(0)
	v_cmp_eq_u64_e32 vcc, v[9:10], v[4:5]
	v_mov_b32_e32 v4, v9
	s_or_b64 s[4:5], vcc, s[4:5]
	v_mov_b32_e32 v5, v10
	s_andn2_b64 exec, exec, s[4:5]
	s_cbranch_execnz .LBB3_1453
.LBB3_1454:
	s_or_b64 exec, exec, s[10:11]
.LBB3_1455:
	s_getpc_b64 s[6:7]
	s_add_u32 s6, s6, .str.2@rel32@lo+4
	s_addc_u32 s7, s7, .str.2@rel32@hi+12
	s_cmp_lg_u64 s[6:7], 0
	s_cbranch_scc0 .LBB3_1540
; %bb.1456:
	s_waitcnt vmcnt(0)
	v_and_b32_e32 v6, -3, v0
	v_mov_b32_e32 v7, v1
	s_mov_b64 s[10:11], 13
	v_mov_b32_e32 v26, 0
	v_mov_b32_e32 v4, 2
	;; [unrolled: 1-line block ×3, first 2 shown]
	s_branch .LBB3_1458
.LBB3_1457:                             ;   in Loop: Header=BB3_1458 Depth=1
	s_or_b64 exec, exec, s[20:21]
	s_sub_u32 s10, s10, s16
	s_subb_u32 s11, s11, s17
	s_add_u32 s6, s6, s16
	s_addc_u32 s7, s7, s17
	s_cmp_lg_u64 s[10:11], 0
	s_cbranch_scc0 .LBB3_1539
.LBB3_1458:                             ; =>This Loop Header: Depth=1
                                        ;     Child Loop BB3_1461 Depth 2
                                        ;     Child Loop BB3_1468 Depth 2
	;; [unrolled: 1-line block ×11, first 2 shown]
	v_cmp_lt_u64_e64 s[4:5], s[10:11], 56
	v_cmp_gt_u64_e64 s[18:19], s[10:11], 7
	s_and_b64 s[4:5], s[4:5], exec
	s_cselect_b32 s17, s11, 0
	s_cselect_b32 s16, s10, 56
	s_and_b64 vcc, exec, s[18:19]
	s_cbranch_vccnz .LBB3_1463
; %bb.1459:                             ;   in Loop: Header=BB3_1458 Depth=1
	s_waitcnt vmcnt(0)
	v_mov_b32_e32 v8, 0
	s_cmp_eq_u64 s[10:11], 0
	v_mov_b32_e32 v9, 0
	s_mov_b64 s[4:5], 0
	s_cbranch_scc1 .LBB3_1462
; %bb.1460:                             ;   in Loop: Header=BB3_1458 Depth=1
	v_mov_b32_e32 v8, 0
	s_lshl_b64 s[18:19], s[16:17], 3
	s_mov_b64 s[20:21], 0
	v_mov_b32_e32 v9, 0
	s_mov_b64 s[22:23], s[6:7]
.LBB3_1461:                             ;   Parent Loop BB3_1458 Depth=1
                                        ; =>  This Inner Loop Header: Depth=2
	global_load_ubyte v2, v26, s[22:23]
	s_waitcnt vmcnt(0)
	v_and_b32_e32 v25, 0xffff, v2
	v_lshlrev_b64 v[2:3], s20, v[25:26]
	s_add_u32 s20, s20, 8
	s_addc_u32 s21, s21, 0
	s_add_u32 s22, s22, 1
	s_addc_u32 s23, s23, 0
	v_or_b32_e32 v8, v2, v8
	s_cmp_lg_u32 s18, s20
	v_or_b32_e32 v9, v3, v9
	s_cbranch_scc1 .LBB3_1461
.LBB3_1462:                             ;   in Loop: Header=BB3_1458 Depth=1
	s_mov_b32 s15, 0
	s_andn2_b64 vcc, exec, s[4:5]
	s_mov_b64 s[4:5], s[6:7]
	s_cbranch_vccz .LBB3_1464
	s_branch .LBB3_1465
.LBB3_1463:                             ;   in Loop: Header=BB3_1458 Depth=1
                                        ; implicit-def: $sgpr15
	s_mov_b64 s[4:5], s[6:7]
.LBB3_1464:                             ;   in Loop: Header=BB3_1458 Depth=1
	global_load_dwordx2 v[8:9], v26, s[6:7]
	s_add_i32 s15, s16, -8
	s_add_u32 s4, s6, 8
	s_addc_u32 s5, s7, 0
.LBB3_1465:                             ;   in Loop: Header=BB3_1458 Depth=1
	s_cmp_gt_u32 s15, 7
	s_cbranch_scc1 .LBB3_1469
; %bb.1466:                             ;   in Loop: Header=BB3_1458 Depth=1
	s_cmp_eq_u32 s15, 0
	s_cbranch_scc1 .LBB3_1470
; %bb.1467:                             ;   in Loop: Header=BB3_1458 Depth=1
	v_mov_b32_e32 v10, 0
	s_mov_b64 s[18:19], 0
	v_mov_b32_e32 v11, 0
	s_mov_b64 s[20:21], 0
.LBB3_1468:                             ;   Parent Loop BB3_1458 Depth=1
                                        ; =>  This Inner Loop Header: Depth=2
	s_add_u32 s22, s4, s20
	s_addc_u32 s23, s5, s21
	global_load_ubyte v2, v26, s[22:23]
	s_add_u32 s20, s20, 1
	s_addc_u32 s21, s21, 0
	s_waitcnt vmcnt(0)
	v_and_b32_e32 v25, 0xffff, v2
	v_lshlrev_b64 v[2:3], s18, v[25:26]
	s_add_u32 s18, s18, 8
	s_addc_u32 s19, s19, 0
	v_or_b32_e32 v10, v2, v10
	s_cmp_lg_u32 s15, s20
	v_or_b32_e32 v11, v3, v11
	s_cbranch_scc1 .LBB3_1468
	s_branch .LBB3_1471
.LBB3_1469:                             ;   in Loop: Header=BB3_1458 Depth=1
                                        ; implicit-def: $vgpr10_vgpr11
                                        ; implicit-def: $sgpr22
	s_branch .LBB3_1472
.LBB3_1470:                             ;   in Loop: Header=BB3_1458 Depth=1
	v_mov_b32_e32 v10, 0
	v_mov_b32_e32 v11, 0
.LBB3_1471:                             ;   in Loop: Header=BB3_1458 Depth=1
	s_mov_b32 s22, 0
	s_cbranch_execnz .LBB3_1473
.LBB3_1472:                             ;   in Loop: Header=BB3_1458 Depth=1
	global_load_dwordx2 v[10:11], v26, s[4:5]
	s_add_i32 s22, s15, -8
	s_add_u32 s4, s4, 8
	s_addc_u32 s5, s5, 0
.LBB3_1473:                             ;   in Loop: Header=BB3_1458 Depth=1
	s_cmp_gt_u32 s22, 7
	s_cbranch_scc1 .LBB3_1477
; %bb.1474:                             ;   in Loop: Header=BB3_1458 Depth=1
	s_cmp_eq_u32 s22, 0
	s_cbranch_scc1 .LBB3_1478
; %bb.1475:                             ;   in Loop: Header=BB3_1458 Depth=1
	v_mov_b32_e32 v12, 0
	s_mov_b64 s[18:19], 0
	v_mov_b32_e32 v13, 0
	s_mov_b64 s[20:21], 0
.LBB3_1476:                             ;   Parent Loop BB3_1458 Depth=1
                                        ; =>  This Inner Loop Header: Depth=2
	s_add_u32 s24, s4, s20
	s_addc_u32 s25, s5, s21
	global_load_ubyte v2, v26, s[24:25]
	s_add_u32 s20, s20, 1
	s_addc_u32 s21, s21, 0
	s_waitcnt vmcnt(0)
	v_and_b32_e32 v25, 0xffff, v2
	v_lshlrev_b64 v[2:3], s18, v[25:26]
	s_add_u32 s18, s18, 8
	s_addc_u32 s19, s19, 0
	v_or_b32_e32 v12, v2, v12
	s_cmp_lg_u32 s22, s20
	v_or_b32_e32 v13, v3, v13
	s_cbranch_scc1 .LBB3_1476
	s_branch .LBB3_1479
.LBB3_1477:                             ;   in Loop: Header=BB3_1458 Depth=1
                                        ; implicit-def: $sgpr15
	s_branch .LBB3_1480
.LBB3_1478:                             ;   in Loop: Header=BB3_1458 Depth=1
	v_mov_b32_e32 v12, 0
	v_mov_b32_e32 v13, 0
.LBB3_1479:                             ;   in Loop: Header=BB3_1458 Depth=1
	s_mov_b32 s15, 0
	s_cbranch_execnz .LBB3_1481
.LBB3_1480:                             ;   in Loop: Header=BB3_1458 Depth=1
	global_load_dwordx2 v[12:13], v26, s[4:5]
	s_add_i32 s15, s22, -8
	s_add_u32 s4, s4, 8
	s_addc_u32 s5, s5, 0
.LBB3_1481:                             ;   in Loop: Header=BB3_1458 Depth=1
	s_cmp_gt_u32 s15, 7
	s_cbranch_scc1 .LBB3_1485
; %bb.1482:                             ;   in Loop: Header=BB3_1458 Depth=1
	s_cmp_eq_u32 s15, 0
	s_cbranch_scc1 .LBB3_1486
; %bb.1483:                             ;   in Loop: Header=BB3_1458 Depth=1
	v_mov_b32_e32 v14, 0
	s_mov_b64 s[18:19], 0
	v_mov_b32_e32 v15, 0
	s_mov_b64 s[20:21], 0
.LBB3_1484:                             ;   Parent Loop BB3_1458 Depth=1
                                        ; =>  This Inner Loop Header: Depth=2
	s_add_u32 s22, s4, s20
	s_addc_u32 s23, s5, s21
	global_load_ubyte v2, v26, s[22:23]
	s_add_u32 s20, s20, 1
	s_addc_u32 s21, s21, 0
	s_waitcnt vmcnt(0)
	v_and_b32_e32 v25, 0xffff, v2
	v_lshlrev_b64 v[2:3], s18, v[25:26]
	s_add_u32 s18, s18, 8
	s_addc_u32 s19, s19, 0
	v_or_b32_e32 v14, v2, v14
	s_cmp_lg_u32 s15, s20
	v_or_b32_e32 v15, v3, v15
	s_cbranch_scc1 .LBB3_1484
	s_branch .LBB3_1487
.LBB3_1485:                             ;   in Loop: Header=BB3_1458 Depth=1
                                        ; implicit-def: $vgpr14_vgpr15
                                        ; implicit-def: $sgpr22
	s_branch .LBB3_1488
.LBB3_1486:                             ;   in Loop: Header=BB3_1458 Depth=1
	v_mov_b32_e32 v14, 0
	v_mov_b32_e32 v15, 0
.LBB3_1487:                             ;   in Loop: Header=BB3_1458 Depth=1
	s_mov_b32 s22, 0
	s_cbranch_execnz .LBB3_1489
.LBB3_1488:                             ;   in Loop: Header=BB3_1458 Depth=1
	global_load_dwordx2 v[14:15], v26, s[4:5]
	s_add_i32 s22, s15, -8
	s_add_u32 s4, s4, 8
	s_addc_u32 s5, s5, 0
.LBB3_1489:                             ;   in Loop: Header=BB3_1458 Depth=1
	s_cmp_gt_u32 s22, 7
	s_cbranch_scc1 .LBB3_1493
; %bb.1490:                             ;   in Loop: Header=BB3_1458 Depth=1
	s_cmp_eq_u32 s22, 0
	s_cbranch_scc1 .LBB3_1494
; %bb.1491:                             ;   in Loop: Header=BB3_1458 Depth=1
	v_mov_b32_e32 v16, 0
	s_mov_b64 s[18:19], 0
	v_mov_b32_e32 v17, 0
	s_mov_b64 s[20:21], 0
.LBB3_1492:                             ;   Parent Loop BB3_1458 Depth=1
                                        ; =>  This Inner Loop Header: Depth=2
	s_add_u32 s24, s4, s20
	s_addc_u32 s25, s5, s21
	global_load_ubyte v2, v26, s[24:25]
	s_add_u32 s20, s20, 1
	s_addc_u32 s21, s21, 0
	s_waitcnt vmcnt(0)
	v_and_b32_e32 v25, 0xffff, v2
	v_lshlrev_b64 v[2:3], s18, v[25:26]
	s_add_u32 s18, s18, 8
	s_addc_u32 s19, s19, 0
	v_or_b32_e32 v16, v2, v16
	s_cmp_lg_u32 s22, s20
	v_or_b32_e32 v17, v3, v17
	s_cbranch_scc1 .LBB3_1492
	s_branch .LBB3_1495
.LBB3_1493:                             ;   in Loop: Header=BB3_1458 Depth=1
                                        ; implicit-def: $sgpr15
	s_branch .LBB3_1496
.LBB3_1494:                             ;   in Loop: Header=BB3_1458 Depth=1
	v_mov_b32_e32 v16, 0
	v_mov_b32_e32 v17, 0
.LBB3_1495:                             ;   in Loop: Header=BB3_1458 Depth=1
	s_mov_b32 s15, 0
	s_cbranch_execnz .LBB3_1497
.LBB3_1496:                             ;   in Loop: Header=BB3_1458 Depth=1
	global_load_dwordx2 v[16:17], v26, s[4:5]
	s_add_i32 s15, s22, -8
	s_add_u32 s4, s4, 8
	s_addc_u32 s5, s5, 0
.LBB3_1497:                             ;   in Loop: Header=BB3_1458 Depth=1
	s_cmp_gt_u32 s15, 7
	s_cbranch_scc1 .LBB3_1501
; %bb.1498:                             ;   in Loop: Header=BB3_1458 Depth=1
	s_cmp_eq_u32 s15, 0
	s_cbranch_scc1 .LBB3_1502
; %bb.1499:                             ;   in Loop: Header=BB3_1458 Depth=1
	v_mov_b32_e32 v18, 0
	s_mov_b64 s[18:19], 0
	v_mov_b32_e32 v19, 0
	s_mov_b64 s[20:21], 0
.LBB3_1500:                             ;   Parent Loop BB3_1458 Depth=1
                                        ; =>  This Inner Loop Header: Depth=2
	s_add_u32 s22, s4, s20
	s_addc_u32 s23, s5, s21
	global_load_ubyte v2, v26, s[22:23]
	s_add_u32 s20, s20, 1
	s_addc_u32 s21, s21, 0
	s_waitcnt vmcnt(0)
	v_and_b32_e32 v25, 0xffff, v2
	v_lshlrev_b64 v[2:3], s18, v[25:26]
	s_add_u32 s18, s18, 8
	s_addc_u32 s19, s19, 0
	v_or_b32_e32 v18, v2, v18
	s_cmp_lg_u32 s15, s20
	v_or_b32_e32 v19, v3, v19
	s_cbranch_scc1 .LBB3_1500
	s_branch .LBB3_1503
.LBB3_1501:                             ;   in Loop: Header=BB3_1458 Depth=1
                                        ; implicit-def: $vgpr18_vgpr19
                                        ; implicit-def: $sgpr22
	s_branch .LBB3_1504
.LBB3_1502:                             ;   in Loop: Header=BB3_1458 Depth=1
	v_mov_b32_e32 v18, 0
	v_mov_b32_e32 v19, 0
.LBB3_1503:                             ;   in Loop: Header=BB3_1458 Depth=1
	s_mov_b32 s22, 0
	s_cbranch_execnz .LBB3_1505
.LBB3_1504:                             ;   in Loop: Header=BB3_1458 Depth=1
	global_load_dwordx2 v[18:19], v26, s[4:5]
	s_add_i32 s22, s15, -8
	s_add_u32 s4, s4, 8
	s_addc_u32 s5, s5, 0
.LBB3_1505:                             ;   in Loop: Header=BB3_1458 Depth=1
	s_cmp_gt_u32 s22, 7
	s_cbranch_scc1 .LBB3_1509
; %bb.1506:                             ;   in Loop: Header=BB3_1458 Depth=1
	s_cmp_eq_u32 s22, 0
	s_cbranch_scc1 .LBB3_1510
; %bb.1507:                             ;   in Loop: Header=BB3_1458 Depth=1
	v_mov_b32_e32 v20, 0
	s_mov_b64 s[18:19], 0
	v_mov_b32_e32 v21, 0
	s_mov_b64 s[20:21], s[4:5]
.LBB3_1508:                             ;   Parent Loop BB3_1458 Depth=1
                                        ; =>  This Inner Loop Header: Depth=2
	global_load_ubyte v2, v26, s[20:21]
	s_add_i32 s22, s22, -1
	s_waitcnt vmcnt(0)
	v_and_b32_e32 v25, 0xffff, v2
	v_lshlrev_b64 v[2:3], s18, v[25:26]
	s_add_u32 s18, s18, 8
	s_addc_u32 s19, s19, 0
	s_add_u32 s20, s20, 1
	s_addc_u32 s21, s21, 0
	v_or_b32_e32 v20, v2, v20
	s_cmp_lg_u32 s22, 0
	v_or_b32_e32 v21, v3, v21
	s_cbranch_scc1 .LBB3_1508
	s_branch .LBB3_1511
.LBB3_1509:                             ;   in Loop: Header=BB3_1458 Depth=1
	s_branch .LBB3_1512
.LBB3_1510:                             ;   in Loop: Header=BB3_1458 Depth=1
	v_mov_b32_e32 v20, 0
	v_mov_b32_e32 v21, 0
.LBB3_1511:                             ;   in Loop: Header=BB3_1458 Depth=1
	s_cbranch_execnz .LBB3_1513
.LBB3_1512:                             ;   in Loop: Header=BB3_1458 Depth=1
	global_load_dwordx2 v[20:21], v26, s[4:5]
.LBB3_1513:                             ;   in Loop: Header=BB3_1458 Depth=1
	v_readfirstlane_b32 s4, v50
	v_mov_b32_e32 v2, 0
	v_mov_b32_e32 v3, 0
	v_cmp_eq_u32_e64 s[4:5], s4, v50
	s_and_saveexec_b64 s[18:19], s[4:5]
	s_cbranch_execz .LBB3_1519
; %bb.1514:                             ;   in Loop: Header=BB3_1458 Depth=1
	global_load_dwordx2 v[24:25], v26, s[36:37] offset:24 glc
	s_waitcnt vmcnt(0)
	buffer_wbinvl1_vol
	global_load_dwordx2 v[2:3], v26, s[36:37] offset:40
	global_load_dwordx2 v[22:23], v26, s[36:37]
	s_waitcnt vmcnt(1)
	v_and_b32_e32 v2, v2, v24
	v_and_b32_e32 v3, v3, v25
	v_mul_lo_u32 v3, v3, 24
	v_mul_hi_u32 v27, v2, 24
	v_mul_lo_u32 v2, v2, 24
	v_add_u32_e32 v3, v27, v3
	s_waitcnt vmcnt(0)
	v_add_co_u32_e32 v2, vcc, v22, v2
	v_addc_co_u32_e32 v3, vcc, v23, v3, vcc
	global_load_dwordx2 v[22:23], v[2:3], off glc
	s_waitcnt vmcnt(0)
	global_atomic_cmpswap_x2 v[2:3], v26, v[22:25], s[36:37] offset:24 glc
	s_waitcnt vmcnt(0)
	buffer_wbinvl1_vol
	v_cmp_ne_u64_e32 vcc, v[2:3], v[24:25]
	s_and_saveexec_b64 s[20:21], vcc
	s_cbranch_execz .LBB3_1518
; %bb.1515:                             ;   in Loop: Header=BB3_1458 Depth=1
	s_mov_b64 s[22:23], 0
.LBB3_1516:                             ;   Parent Loop BB3_1458 Depth=1
                                        ; =>  This Inner Loop Header: Depth=2
	s_sleep 1
	global_load_dwordx2 v[22:23], v26, s[36:37] offset:40
	global_load_dwordx2 v[27:28], v26, s[36:37]
	v_mov_b32_e32 v25, v3
	v_mov_b32_e32 v24, v2
	s_waitcnt vmcnt(1)
	v_and_b32_e32 v2, v22, v24
	s_waitcnt vmcnt(0)
	v_mad_u64_u32 v[2:3], s[24:25], v2, 24, v[27:28]
	v_and_b32_e32 v22, v23, v25
	v_mad_u64_u32 v[22:23], s[24:25], v22, 24, v[3:4]
	v_mov_b32_e32 v3, v22
	global_load_dwordx2 v[22:23], v[2:3], off glc
	s_waitcnt vmcnt(0)
	global_atomic_cmpswap_x2 v[2:3], v26, v[22:25], s[36:37] offset:24 glc
	s_waitcnt vmcnt(0)
	buffer_wbinvl1_vol
	v_cmp_eq_u64_e32 vcc, v[2:3], v[24:25]
	s_or_b64 s[22:23], vcc, s[22:23]
	s_andn2_b64 exec, exec, s[22:23]
	s_cbranch_execnz .LBB3_1516
; %bb.1517:                             ;   in Loop: Header=BB3_1458 Depth=1
	s_or_b64 exec, exec, s[22:23]
.LBB3_1518:                             ;   in Loop: Header=BB3_1458 Depth=1
	s_or_b64 exec, exec, s[20:21]
.LBB3_1519:                             ;   in Loop: Header=BB3_1458 Depth=1
	s_or_b64 exec, exec, s[18:19]
	global_load_dwordx2 v[27:28], v26, s[36:37] offset:40
	global_load_dwordx4 v[22:25], v26, s[36:37]
	v_readfirstlane_b32 s18, v2
	v_readfirstlane_b32 s19, v3
	s_mov_b64 s[20:21], exec
	s_waitcnt vmcnt(1)
	v_readfirstlane_b32 s22, v27
	v_readfirstlane_b32 s23, v28
	s_and_b64 s[22:23], s[18:19], s[22:23]
	s_mul_i32 s15, s23, 24
	s_mul_hi_u32 s24, s22, 24
	s_mul_i32 s25, s22, 24
	s_add_i32 s15, s24, s15
	v_mov_b32_e32 v2, s15
	s_waitcnt vmcnt(0)
	v_add_co_u32_e32 v27, vcc, s25, v22
	v_addc_co_u32_e32 v28, vcc, v23, v2, vcc
	s_and_saveexec_b64 s[24:25], s[4:5]
	s_cbranch_execz .LBB3_1521
; %bb.1520:                             ;   in Loop: Header=BB3_1458 Depth=1
	v_mov_b32_e32 v2, s20
	v_mov_b32_e32 v3, s21
	global_store_dwordx4 v[27:28], v[2:5], off offset:8
.LBB3_1521:                             ;   in Loop: Header=BB3_1458 Depth=1
	s_or_b64 exec, exec, s[24:25]
	s_lshl_b64 s[20:21], s[22:23], 12
	v_mov_b32_e32 v2, s21
	v_add_co_u32_e32 v24, vcc, s20, v24
	v_addc_co_u32_e32 v29, vcc, v25, v2, vcc
	v_cmp_gt_u64_e64 vcc, s[10:11], 56
	v_or_b32_e32 v2, 2, v6
	s_lshl_b32 s15, s16, 2
	v_cndmask_b32_e32 v2, v2, v6, vcc
	s_add_i32 s15, s15, 28
	s_and_b32 s15, s15, 0x1e0
	v_and_b32_e32 v2, 0xffffff1f, v2
	v_or_b32_e32 v6, s15, v2
	v_readfirstlane_b32 s20, v24
	v_readfirstlane_b32 s21, v29
	s_nop 4
	global_store_dwordx4 v39, v[6:9], s[20:21]
	global_store_dwordx4 v39, v[10:13], s[20:21] offset:16
	global_store_dwordx4 v39, v[14:17], s[20:21] offset:32
	;; [unrolled: 1-line block ×3, first 2 shown]
	s_and_saveexec_b64 s[20:21], s[4:5]
	s_cbranch_execz .LBB3_1529
; %bb.1522:                             ;   in Loop: Header=BB3_1458 Depth=1
	global_load_dwordx2 v[10:11], v26, s[36:37] offset:32 glc
	global_load_dwordx2 v[2:3], v26, s[36:37] offset:40
	v_mov_b32_e32 v8, s18
	v_mov_b32_e32 v9, s19
	s_waitcnt vmcnt(0)
	v_readfirstlane_b32 s22, v2
	v_readfirstlane_b32 s23, v3
	s_and_b64 s[22:23], s[22:23], s[18:19]
	s_mul_i32 s15, s23, 24
	s_mul_hi_u32 s23, s22, 24
	s_mul_i32 s22, s22, 24
	s_add_i32 s15, s23, s15
	v_mov_b32_e32 v3, s15
	v_add_co_u32_e32 v2, vcc, s22, v22
	v_addc_co_u32_e32 v3, vcc, v23, v3, vcc
	global_store_dwordx2 v[2:3], v[10:11], off
	s_waitcnt vmcnt(0)
	global_atomic_cmpswap_x2 v[8:9], v26, v[8:11], s[36:37] offset:32 glc
	s_waitcnt vmcnt(0)
	v_cmp_ne_u64_e32 vcc, v[8:9], v[10:11]
	s_and_saveexec_b64 s[22:23], vcc
	s_cbranch_execz .LBB3_1525
; %bb.1523:                             ;   in Loop: Header=BB3_1458 Depth=1
	s_mov_b64 s[24:25], 0
.LBB3_1524:                             ;   Parent Loop BB3_1458 Depth=1
                                        ; =>  This Inner Loop Header: Depth=2
	s_sleep 1
	global_store_dwordx2 v[2:3], v[8:9], off
	v_mov_b32_e32 v6, s18
	v_mov_b32_e32 v7, s19
	s_waitcnt vmcnt(0)
	global_atomic_cmpswap_x2 v[6:7], v26, v[6:9], s[36:37] offset:32 glc
	s_waitcnt vmcnt(0)
	v_cmp_eq_u64_e32 vcc, v[6:7], v[8:9]
	v_mov_b32_e32 v9, v7
	s_or_b64 s[24:25], vcc, s[24:25]
	v_mov_b32_e32 v8, v6
	s_andn2_b64 exec, exec, s[24:25]
	s_cbranch_execnz .LBB3_1524
.LBB3_1525:                             ;   in Loop: Header=BB3_1458 Depth=1
	s_or_b64 exec, exec, s[22:23]
	global_load_dwordx2 v[2:3], v26, s[36:37] offset:16
	s_mov_b64 s[24:25], exec
	v_mbcnt_lo_u32_b32 v6, s24, 0
	v_mbcnt_hi_u32_b32 v6, s25, v6
	v_cmp_eq_u32_e32 vcc, 0, v6
	s_and_saveexec_b64 s[22:23], vcc
	s_cbranch_execz .LBB3_1527
; %bb.1526:                             ;   in Loop: Header=BB3_1458 Depth=1
	s_bcnt1_i32_b64 s15, s[24:25]
	v_mov_b32_e32 v25, s15
	s_waitcnt vmcnt(0)
	global_atomic_add_x2 v[2:3], v[25:26], off offset:8
.LBB3_1527:                             ;   in Loop: Header=BB3_1458 Depth=1
	s_or_b64 exec, exec, s[22:23]
	s_waitcnt vmcnt(0)
	global_load_dwordx2 v[6:7], v[2:3], off offset:16
	s_waitcnt vmcnt(0)
	v_cmp_eq_u64_e32 vcc, 0, v[6:7]
	s_cbranch_vccnz .LBB3_1529
; %bb.1528:                             ;   in Loop: Header=BB3_1458 Depth=1
	global_load_dword v25, v[2:3], off offset:24
	s_waitcnt vmcnt(0)
	v_and_b32_e32 v2, 0xffffff, v25
	v_readfirstlane_b32 m0, v2
	global_store_dwordx2 v[6:7], v[25:26], off
	s_sendmsg sendmsg(MSG_INTERRUPT)
.LBB3_1529:                             ;   in Loop: Header=BB3_1458 Depth=1
	s_or_b64 exec, exec, s[20:21]
	v_add_co_u32_e32 v2, vcc, v24, v39
	v_addc_co_u32_e32 v3, vcc, 0, v29, vcc
	s_branch .LBB3_1533
.LBB3_1530:                             ;   in Loop: Header=BB3_1533 Depth=2
	s_or_b64 exec, exec, s[20:21]
	v_readfirstlane_b32 s15, v6
	s_cmp_eq_u32 s15, 0
	s_cbranch_scc1 .LBB3_1532
; %bb.1531:                             ;   in Loop: Header=BB3_1533 Depth=2
	s_sleep 1
	s_cbranch_execnz .LBB3_1533
	s_branch .LBB3_1535
.LBB3_1532:                             ;   in Loop: Header=BB3_1458 Depth=1
	s_branch .LBB3_1535
.LBB3_1533:                             ;   Parent Loop BB3_1458 Depth=1
                                        ; =>  This Inner Loop Header: Depth=2
	v_mov_b32_e32 v6, 1
	s_and_saveexec_b64 s[20:21], s[4:5]
	s_cbranch_execz .LBB3_1530
; %bb.1534:                             ;   in Loop: Header=BB3_1533 Depth=2
	global_load_dword v6, v[27:28], off offset:20 glc
	s_waitcnt vmcnt(0)
	buffer_wbinvl1_vol
	v_and_b32_e32 v6, 1, v6
	s_branch .LBB3_1530
.LBB3_1535:                             ;   in Loop: Header=BB3_1458 Depth=1
	global_load_dwordx4 v[6:9], v[2:3], off
	s_and_saveexec_b64 s[20:21], s[4:5]
	s_cbranch_execz .LBB3_1457
; %bb.1536:                             ;   in Loop: Header=BB3_1458 Depth=1
	global_load_dwordx2 v[2:3], v26, s[36:37] offset:40
	global_load_dwordx2 v[12:13], v26, s[36:37] offset:24 glc
	global_load_dwordx2 v[14:15], v26, s[36:37]
	s_waitcnt vmcnt(3)
	v_mov_b32_e32 v9, s19
	s_waitcnt vmcnt(2)
	v_add_co_u32_e32 v10, vcc, 1, v2
	v_addc_co_u32_e32 v11, vcc, 0, v3, vcc
	v_add_co_u32_e32 v8, vcc, s18, v10
	v_addc_co_u32_e32 v9, vcc, v11, v9, vcc
	v_cmp_eq_u64_e32 vcc, 0, v[8:9]
	v_cndmask_b32_e32 v9, v9, v11, vcc
	v_cndmask_b32_e32 v8, v8, v10, vcc
	v_and_b32_e32 v3, v9, v3
	v_and_b32_e32 v2, v8, v2
	v_mul_lo_u32 v3, v3, 24
	v_mul_hi_u32 v11, v2, 24
	v_mul_lo_u32 v2, v2, 24
	s_waitcnt vmcnt(1)
	v_mov_b32_e32 v10, v12
	v_add_u32_e32 v3, v11, v3
	s_waitcnt vmcnt(0)
	v_add_co_u32_e32 v2, vcc, v14, v2
	v_addc_co_u32_e32 v3, vcc, v15, v3, vcc
	global_store_dwordx2 v[2:3], v[12:13], off
	v_mov_b32_e32 v11, v13
	s_waitcnt vmcnt(0)
	global_atomic_cmpswap_x2 v[10:11], v26, v[8:11], s[36:37] offset:24 glc
	s_waitcnt vmcnt(0)
	v_cmp_ne_u64_e32 vcc, v[10:11], v[12:13]
	s_and_b64 exec, exec, vcc
	s_cbranch_execz .LBB3_1457
; %bb.1537:                             ;   in Loop: Header=BB3_1458 Depth=1
	s_mov_b64 s[4:5], 0
.LBB3_1538:                             ;   Parent Loop BB3_1458 Depth=1
                                        ; =>  This Inner Loop Header: Depth=2
	s_sleep 1
	global_store_dwordx2 v[2:3], v[10:11], off
	s_waitcnt vmcnt(0)
	global_atomic_cmpswap_x2 v[12:13], v26, v[8:11], s[36:37] offset:24 glc
	s_waitcnt vmcnt(0)
	v_cmp_eq_u64_e32 vcc, v[12:13], v[10:11]
	v_mov_b32_e32 v10, v12
	s_or_b64 s[4:5], vcc, s[4:5]
	v_mov_b32_e32 v11, v13
	s_andn2_b64 exec, exec, s[4:5]
	s_cbranch_execnz .LBB3_1538
	s_branch .LBB3_1457
.LBB3_1539:
	s_mov_b64 s[4:5], 0
	s_branch .LBB3_1541
.LBB3_1540:
	s_mov_b64 s[4:5], -1
.LBB3_1541:
	s_mov_b32 s38, s12
	s_mov_b32 s42, s13
	;; [unrolled: 1-line block ×3, first 2 shown]
	s_and_b64 vcc, exec, s[4:5]
	s_cbranch_vccz .LBB3_1568
; %bb.1542:
	v_readfirstlane_b32 s4, v50
	s_waitcnt vmcnt(0)
	v_mov_b32_e32 v8, 0
	v_mov_b32_e32 v9, 0
	v_cmp_eq_u32_e64 s[4:5], s4, v50
	s_and_saveexec_b64 s[6:7], s[4:5]
	s_cbranch_execz .LBB3_1548
; %bb.1543:
	v_mov_b32_e32 v2, 0
	global_load_dwordx2 v[5:6], v2, s[36:37] offset:24 glc
	s_waitcnt vmcnt(0)
	buffer_wbinvl1_vol
	global_load_dwordx2 v[3:4], v2, s[36:37] offset:40
	global_load_dwordx2 v[7:8], v2, s[36:37]
	s_waitcnt vmcnt(1)
	v_and_b32_e32 v3, v3, v5
	v_and_b32_e32 v4, v4, v6
	v_mul_lo_u32 v4, v4, 24
	v_mul_hi_u32 v9, v3, 24
	v_mul_lo_u32 v3, v3, 24
	v_add_u32_e32 v4, v9, v4
	s_waitcnt vmcnt(0)
	v_add_co_u32_e32 v3, vcc, v7, v3
	v_addc_co_u32_e32 v4, vcc, v8, v4, vcc
	global_load_dwordx2 v[3:4], v[3:4], off glc
	s_waitcnt vmcnt(0)
	global_atomic_cmpswap_x2 v[8:9], v2, v[3:6], s[36:37] offset:24 glc
	s_waitcnt vmcnt(0)
	buffer_wbinvl1_vol
	v_cmp_ne_u64_e32 vcc, v[8:9], v[5:6]
	s_and_saveexec_b64 s[10:11], vcc
	s_cbranch_execz .LBB3_1547
; %bb.1544:
	s_mov_b64 s[12:13], 0
.LBB3_1545:                             ; =>This Inner Loop Header: Depth=1
	s_sleep 1
	global_load_dwordx2 v[3:4], v2, s[36:37] offset:40
	global_load_dwordx2 v[10:11], v2, s[36:37]
	v_mov_b32_e32 v5, v8
	v_mov_b32_e32 v6, v9
	s_waitcnt vmcnt(1)
	v_and_b32_e32 v3, v3, v5
	s_waitcnt vmcnt(0)
	v_mad_u64_u32 v[7:8], s[14:15], v3, 24, v[10:11]
	v_and_b32_e32 v4, v4, v6
	v_mov_b32_e32 v3, v8
	v_mad_u64_u32 v[3:4], s[14:15], v4, 24, v[3:4]
	v_mov_b32_e32 v8, v3
	global_load_dwordx2 v[3:4], v[7:8], off glc
	s_waitcnt vmcnt(0)
	global_atomic_cmpswap_x2 v[8:9], v2, v[3:6], s[36:37] offset:24 glc
	s_waitcnt vmcnt(0)
	buffer_wbinvl1_vol
	v_cmp_eq_u64_e32 vcc, v[8:9], v[5:6]
	s_or_b64 s[12:13], vcc, s[12:13]
	s_andn2_b64 exec, exec, s[12:13]
	s_cbranch_execnz .LBB3_1545
; %bb.1546:
	s_or_b64 exec, exec, s[12:13]
.LBB3_1547:
	s_or_b64 exec, exec, s[10:11]
.LBB3_1548:
	s_or_b64 exec, exec, s[6:7]
	v_mov_b32_e32 v2, 0
	global_load_dwordx2 v[10:11], v2, s[36:37] offset:40
	global_load_dwordx4 v[4:7], v2, s[36:37]
	v_readfirstlane_b32 s6, v8
	v_readfirstlane_b32 s7, v9
	s_mov_b64 s[10:11], exec
	s_waitcnt vmcnt(1)
	v_readfirstlane_b32 s12, v10
	v_readfirstlane_b32 s13, v11
	s_and_b64 s[12:13], s[6:7], s[12:13]
	s_mul_i32 s14, s13, 24
	s_mul_hi_u32 s15, s12, 24
	s_mul_i32 s16, s12, 24
	s_add_i32 s14, s15, s14
	v_mov_b32_e32 v3, s14
	s_waitcnt vmcnt(0)
	v_add_co_u32_e32 v8, vcc, s16, v4
	v_addc_co_u32_e32 v9, vcc, v5, v3, vcc
	s_and_saveexec_b64 s[14:15], s[4:5]
	s_cbranch_execz .LBB3_1550
; %bb.1549:
	v_mov_b32_e32 v10, s10
	v_mov_b32_e32 v11, s11
	;; [unrolled: 1-line block ×4, first 2 shown]
	global_store_dwordx4 v[8:9], v[10:13], off offset:8
.LBB3_1550:
	s_or_b64 exec, exec, s[14:15]
	s_lshl_b64 s[10:11], s[12:13], 12
	v_mov_b32_e32 v3, s11
	v_add_co_u32_e32 v6, vcc, s10, v6
	v_addc_co_u32_e32 v7, vcc, v7, v3, vcc
	s_movk_i32 s10, 0xff1d
	v_and_or_b32 v0, v0, s10, 34
	s_mov_b32 s12, 0
	v_mov_b32_e32 v3, v2
	v_readfirstlane_b32 s10, v6
	v_readfirstlane_b32 s11, v7
	s_mov_b32 s13, s12
	s_mov_b32 s14, s12
	;; [unrolled: 1-line block ×3, first 2 shown]
	s_nop 1
	global_store_dwordx4 v39, v[0:3], s[10:11]
	s_nop 0
	v_mov_b32_e32 v0, s12
	v_mov_b32_e32 v1, s13
	;; [unrolled: 1-line block ×4, first 2 shown]
	global_store_dwordx4 v39, v[0:3], s[10:11] offset:16
	global_store_dwordx4 v39, v[0:3], s[10:11] offset:32
	;; [unrolled: 1-line block ×3, first 2 shown]
	s_and_saveexec_b64 s[10:11], s[4:5]
	s_cbranch_execz .LBB3_1558
; %bb.1551:
	v_mov_b32_e32 v6, 0
	global_load_dwordx2 v[12:13], v6, s[36:37] offset:32 glc
	global_load_dwordx2 v[0:1], v6, s[36:37] offset:40
	v_mov_b32_e32 v10, s6
	v_mov_b32_e32 v11, s7
	s_waitcnt vmcnt(0)
	v_readfirstlane_b32 s12, v0
	v_readfirstlane_b32 s13, v1
	s_and_b64 s[12:13], s[12:13], s[6:7]
	s_mul_i32 s13, s13, 24
	s_mul_hi_u32 s14, s12, 24
	s_mul_i32 s12, s12, 24
	s_add_i32 s13, s14, s13
	v_mov_b32_e32 v0, s13
	v_add_co_u32_e32 v4, vcc, s12, v4
	v_addc_co_u32_e32 v5, vcc, v5, v0, vcc
	global_store_dwordx2 v[4:5], v[12:13], off
	s_waitcnt vmcnt(0)
	global_atomic_cmpswap_x2 v[2:3], v6, v[10:13], s[36:37] offset:32 glc
	s_waitcnt vmcnt(0)
	v_cmp_ne_u64_e32 vcc, v[2:3], v[12:13]
	s_and_saveexec_b64 s[12:13], vcc
	s_cbranch_execz .LBB3_1554
; %bb.1552:
	s_mov_b64 s[14:15], 0
.LBB3_1553:                             ; =>This Inner Loop Header: Depth=1
	s_sleep 1
	global_store_dwordx2 v[4:5], v[2:3], off
	v_mov_b32_e32 v0, s6
	v_mov_b32_e32 v1, s7
	s_waitcnt vmcnt(0)
	global_atomic_cmpswap_x2 v[0:1], v6, v[0:3], s[36:37] offset:32 glc
	s_waitcnt vmcnt(0)
	v_cmp_eq_u64_e32 vcc, v[0:1], v[2:3]
	v_mov_b32_e32 v3, v1
	s_or_b64 s[14:15], vcc, s[14:15]
	v_mov_b32_e32 v2, v0
	s_andn2_b64 exec, exec, s[14:15]
	s_cbranch_execnz .LBB3_1553
.LBB3_1554:
	s_or_b64 exec, exec, s[12:13]
	v_mov_b32_e32 v3, 0
	global_load_dwordx2 v[0:1], v3, s[36:37] offset:16
	s_mov_b64 s[12:13], exec
	v_mbcnt_lo_u32_b32 v2, s12, 0
	v_mbcnt_hi_u32_b32 v2, s13, v2
	v_cmp_eq_u32_e32 vcc, 0, v2
	s_and_saveexec_b64 s[14:15], vcc
	s_cbranch_execz .LBB3_1556
; %bb.1555:
	s_bcnt1_i32_b64 s12, s[12:13]
	v_mov_b32_e32 v2, s12
	s_waitcnt vmcnt(0)
	global_atomic_add_x2 v[0:1], v[2:3], off offset:8
.LBB3_1556:
	s_or_b64 exec, exec, s[14:15]
	s_waitcnt vmcnt(0)
	global_load_dwordx2 v[2:3], v[0:1], off offset:16
	s_waitcnt vmcnt(0)
	v_cmp_eq_u64_e32 vcc, 0, v[2:3]
	s_cbranch_vccnz .LBB3_1558
; %bb.1557:
	global_load_dword v0, v[0:1], off offset:24
	v_mov_b32_e32 v1, 0
	s_waitcnt vmcnt(0)
	global_store_dwordx2 v[2:3], v[0:1], off
	v_and_b32_e32 v0, 0xffffff, v0
	v_readfirstlane_b32 m0, v0
	s_sendmsg sendmsg(MSG_INTERRUPT)
.LBB3_1558:
	s_or_b64 exec, exec, s[10:11]
	s_branch .LBB3_1562
.LBB3_1559:                             ;   in Loop: Header=BB3_1562 Depth=1
	s_or_b64 exec, exec, s[10:11]
	v_readfirstlane_b32 s10, v0
	s_cmp_eq_u32 s10, 0
	s_cbranch_scc1 .LBB3_1561
; %bb.1560:                             ;   in Loop: Header=BB3_1562 Depth=1
	s_sleep 1
	s_cbranch_execnz .LBB3_1562
	s_branch .LBB3_1564
.LBB3_1561:
	s_branch .LBB3_1564
.LBB3_1562:                             ; =>This Inner Loop Header: Depth=1
	v_mov_b32_e32 v0, 1
	s_and_saveexec_b64 s[10:11], s[4:5]
	s_cbranch_execz .LBB3_1559
; %bb.1563:                             ;   in Loop: Header=BB3_1562 Depth=1
	global_load_dword v0, v[8:9], off offset:20 glc
	s_waitcnt vmcnt(0)
	buffer_wbinvl1_vol
	v_and_b32_e32 v0, 1, v0
	s_branch .LBB3_1559
.LBB3_1564:
	s_and_saveexec_b64 s[10:11], s[4:5]
	s_cbranch_execz .LBB3_1567
; %bb.1565:
	v_mov_b32_e32 v6, 0
	global_load_dwordx2 v[2:3], v6, s[36:37] offset:40
	global_load_dwordx2 v[7:8], v6, s[36:37] offset:24 glc
	global_load_dwordx2 v[4:5], v6, s[36:37]
	v_mov_b32_e32 v1, s7
	s_mov_b64 s[4:5], 0
	s_waitcnt vmcnt(2)
	v_add_co_u32_e32 v9, vcc, 1, v2
	v_addc_co_u32_e32 v10, vcc, 0, v3, vcc
	v_add_co_u32_e32 v0, vcc, s6, v9
	v_addc_co_u32_e32 v1, vcc, v10, v1, vcc
	v_cmp_eq_u64_e32 vcc, 0, v[0:1]
	v_cndmask_b32_e32 v1, v1, v10, vcc
	v_cndmask_b32_e32 v0, v0, v9, vcc
	v_and_b32_e32 v3, v1, v3
	v_and_b32_e32 v2, v0, v2
	v_mul_lo_u32 v3, v3, 24
	v_mul_hi_u32 v9, v2, 24
	v_mul_lo_u32 v10, v2, 24
	s_waitcnt vmcnt(1)
	v_mov_b32_e32 v2, v7
	v_add_u32_e32 v3, v9, v3
	s_waitcnt vmcnt(0)
	v_add_co_u32_e32 v4, vcc, v4, v10
	v_addc_co_u32_e32 v5, vcc, v5, v3, vcc
	global_store_dwordx2 v[4:5], v[7:8], off
	v_mov_b32_e32 v3, v8
	s_waitcnt vmcnt(0)
	global_atomic_cmpswap_x2 v[2:3], v6, v[0:3], s[36:37] offset:24 glc
	s_waitcnt vmcnt(0)
	v_cmp_ne_u64_e32 vcc, v[2:3], v[7:8]
	s_and_b64 exec, exec, vcc
	s_cbranch_execz .LBB3_1567
.LBB3_1566:                             ; =>This Inner Loop Header: Depth=1
	s_sleep 1
	global_store_dwordx2 v[4:5], v[2:3], off
	s_waitcnt vmcnt(0)
	global_atomic_cmpswap_x2 v[7:8], v6, v[0:3], s[36:37] offset:24 glc
	s_waitcnt vmcnt(0)
	v_cmp_eq_u64_e32 vcc, v[7:8], v[2:3]
	v_mov_b32_e32 v2, v7
	s_or_b64 s[4:5], vcc, s[4:5]
	v_mov_b32_e32 v3, v8
	s_andn2_b64 exec, exec, s[4:5]
	s_cbranch_execnz .LBB3_1566
.LBB3_1567:
	s_or_b64 exec, exec, s[10:11]
.LBB3_1568:
	s_getpc_b64 s[4:5]
	s_add_u32 s4, s4, .str.14@rel32@lo+4
	s_addc_u32 s5, s5, .str.14@rel32@hi+12
	s_waitcnt vmcnt(0)
	v_mov_b32_e32 v0, s4
	v_mov_b32_e32 v1, s5
	s_getpc_b64 s[44:45]
	s_add_u32 s44, s44, _ZNK8migraphx13basic_printerIZNS_4coutEvEUlT_E_ElsEPKc@rel32@lo+4
	s_addc_u32 s45, s45, _ZNK8migraphx13basic_printerIZNS_4coutEvEUlT_E_ElsEPKc@rel32@hi+12
	s_mov_b64 s[26:27], s[8:9]
	s_swappc_b64 s[30:31], s[44:45]
	s_getpc_b64 s[4:5]
	s_add_u32 s4, s4, .str.3@rel32@lo+4
	s_addc_u32 s5, s5, .str.3@rel32@hi+12
	s_mov_b64 s[8:9], s[26:27]
	v_mov_b32_e32 v0, s4
	v_mov_b32_e32 v1, s5
	s_swappc_b64 s[30:31], s[44:45]
	s_mov_b64 s[8:9], s[26:27]
	v_mov_b32_e32 v0, v48
	v_mov_b32_e32 v1, v49
	s_getpc_b64 s[46:47]
	s_add_u32 s46, s46, _ZN8migraphx4test12print_streamIKNS_13basic_printerIZNS_4coutEvEUlT_E_EEPiEEvRS3_RKT0_@rel32@lo+4
	s_addc_u32 s47, s47, _ZN8migraphx4test12print_streamIKNS_13basic_printerIZNS_4coutEvEUlT_E_EEPiEEvRS3_RKT0_@rel32@hi+12
	s_swappc_b64 s[30:31], s[46:47]
	s_getpc_b64 s[24:25]
	s_add_u32 s24, s24, .str.8@rel32@lo+4
	s_addc_u32 s25, s25, .str.8@rel32@hi+12
	s_mov_b64 s[8:9], s[26:27]
	v_mov_b32_e32 v0, s24
	v_mov_b32_e32 v1, s25
	s_swappc_b64 s[30:31], s[44:45]
	s_getpc_b64 s[4:5]
	s_add_u32 s4, s4, .str.10@rel32@lo+4
	s_addc_u32 s5, s5, .str.10@rel32@hi+12
	s_mov_b64 s[8:9], s[26:27]
	v_mov_b32_e32 v0, s4
	v_mov_b32_e32 v1, s5
	s_swappc_b64 s[30:31], s[44:45]
	s_mov_b64 s[8:9], s[26:27]
	v_mov_b32_e32 v0, s24
	v_mov_b32_e32 v1, s25
	s_swappc_b64 s[30:31], s[44:45]
	v_mov_b32_e32 v1, s39
	s_mov_b64 s[8:9], s[26:27]
	v_mov_b32_e32 v0, v38
	s_swappc_b64 s[30:31], s[46:47]
	s_getpc_b64 s[4:5]
	s_add_u32 s4, s4, .str.4@rel32@lo+4
	s_addc_u32 s5, s5, .str.4@rel32@hi+12
	s_mov_b64 s[8:9], s[26:27]
	v_mov_b32_e32 v0, s4
	v_mov_b32_e32 v1, s5
	s_mov_b64 s[24:25], s[26:27]
	s_swappc_b64 s[30:31], s[44:45]
	v_readfirstlane_b32 s4, v50
	v_mov_b32_e32 v5, 0
	v_mov_b32_e32 v6, 0
	v_cmp_eq_u32_e64 s[4:5], s4, v50
	s_and_saveexec_b64 s[6:7], s[4:5]
	s_mov_b32 s14, s43
	s_mov_b32 s13, s42
	;; [unrolled: 1-line block ×3, first 2 shown]
	s_cbranch_execz .LBB3_1574
; %bb.1569:
	v_mov_b32_e32 v0, 0
	global_load_dwordx2 v[3:4], v0, s[36:37] offset:24 glc
	s_waitcnt vmcnt(0)
	buffer_wbinvl1_vol
	global_load_dwordx2 v[1:2], v0, s[36:37] offset:40
	global_load_dwordx2 v[5:6], v0, s[36:37]
	s_waitcnt vmcnt(1)
	v_and_b32_e32 v1, v1, v3
	v_and_b32_e32 v2, v2, v4
	v_mul_lo_u32 v2, v2, 24
	v_mul_hi_u32 v7, v1, 24
	v_mul_lo_u32 v1, v1, 24
	v_add_u32_e32 v2, v7, v2
	s_waitcnt vmcnt(0)
	v_add_co_u32_e32 v1, vcc, v5, v1
	v_addc_co_u32_e32 v2, vcc, v6, v2, vcc
	global_load_dwordx2 v[1:2], v[1:2], off glc
	s_waitcnt vmcnt(0)
	global_atomic_cmpswap_x2 v[5:6], v0, v[1:4], s[36:37] offset:24 glc
	s_waitcnt vmcnt(0)
	buffer_wbinvl1_vol
	v_cmp_ne_u64_e32 vcc, v[5:6], v[3:4]
	s_and_saveexec_b64 s[8:9], vcc
	s_cbranch_execz .LBB3_1573
; %bb.1570:
	s_mov_b64 s[10:11], 0
.LBB3_1571:                             ; =>This Inner Loop Header: Depth=1
	s_sleep 1
	global_load_dwordx2 v[1:2], v0, s[36:37] offset:40
	global_load_dwordx2 v[7:8], v0, s[36:37]
	v_mov_b32_e32 v3, v5
	v_mov_b32_e32 v4, v6
	s_waitcnt vmcnt(1)
	v_and_b32_e32 v1, v1, v3
	s_waitcnt vmcnt(0)
	v_mad_u64_u32 v[5:6], s[16:17], v1, 24, v[7:8]
	v_and_b32_e32 v2, v2, v4
	v_mov_b32_e32 v1, v6
	v_mad_u64_u32 v[1:2], s[16:17], v2, 24, v[1:2]
	v_mov_b32_e32 v6, v1
	global_load_dwordx2 v[1:2], v[5:6], off glc
	s_waitcnt vmcnt(0)
	global_atomic_cmpswap_x2 v[5:6], v0, v[1:4], s[36:37] offset:24 glc
	s_waitcnt vmcnt(0)
	buffer_wbinvl1_vol
	v_cmp_eq_u64_e32 vcc, v[5:6], v[3:4]
	s_or_b64 s[10:11], vcc, s[10:11]
	s_andn2_b64 exec, exec, s[10:11]
	s_cbranch_execnz .LBB3_1571
; %bb.1572:
	s_or_b64 exec, exec, s[10:11]
.LBB3_1573:
	s_or_b64 exec, exec, s[8:9]
.LBB3_1574:
	s_or_b64 exec, exec, s[6:7]
	v_mov_b32_e32 v4, 0
	global_load_dwordx2 v[7:8], v4, s[36:37] offset:40
	global_load_dwordx4 v[0:3], v4, s[36:37]
	v_readfirstlane_b32 s6, v5
	v_readfirstlane_b32 s7, v6
	s_mov_b64 s[8:9], exec
	s_waitcnt vmcnt(1)
	v_readfirstlane_b32 s10, v7
	v_readfirstlane_b32 s11, v8
	s_and_b64 s[10:11], s[6:7], s[10:11]
	s_mul_i32 s15, s11, 24
	s_mul_hi_u32 s16, s10, 24
	s_mul_i32 s17, s10, 24
	s_add_i32 s15, s16, s15
	v_mov_b32_e32 v5, s15
	s_waitcnt vmcnt(0)
	v_add_co_u32_e32 v7, vcc, s17, v0
	v_addc_co_u32_e32 v8, vcc, v1, v5, vcc
	s_and_saveexec_b64 s[16:17], s[4:5]
	s_cbranch_execz .LBB3_1576
; %bb.1575:
	v_mov_b32_e32 v10, s9
	v_mov_b32_e32 v9, s8
	;; [unrolled: 1-line block ×4, first 2 shown]
	global_store_dwordx4 v[7:8], v[9:12], off offset:8
.LBB3_1576:
	s_or_b64 exec, exec, s[16:17]
	s_lshl_b64 s[8:9], s[10:11], 12
	v_mov_b32_e32 v5, s9
	v_add_co_u32_e32 v2, vcc, s8, v2
	v_addc_co_u32_e32 v11, vcc, v3, v5, vcc
	s_mov_b32 s8, 0
	v_mov_b32_e32 v3, 33
	v_mov_b32_e32 v5, v4
	;; [unrolled: 1-line block ×3, first 2 shown]
	v_readfirstlane_b32 s16, v2
	v_readfirstlane_b32 s17, v11
	v_add_co_u32_e32 v9, vcc, v2, v39
	s_mov_b32 s9, s8
	s_mov_b32 s10, s8
	;; [unrolled: 1-line block ×3, first 2 shown]
	s_nop 0
	global_store_dwordx4 v39, v[3:6], s[16:17]
	v_mov_b32_e32 v2, s8
	v_addc_co_u32_e32 v10, vcc, 0, v11, vcc
	v_mov_b32_e32 v3, s9
	v_mov_b32_e32 v4, s10
	;; [unrolled: 1-line block ×3, first 2 shown]
	global_store_dwordx4 v39, v[2:5], s[16:17] offset:16
	global_store_dwordx4 v39, v[2:5], s[16:17] offset:32
	;; [unrolled: 1-line block ×3, first 2 shown]
	s_and_saveexec_b64 s[10:11], s[4:5]
	s_mov_b64 s[8:9], s[24:25]
	s_cbranch_execz .LBB3_1584
; %bb.1577:
	v_mov_b32_e32 v6, 0
	global_load_dwordx2 v[13:14], v6, s[36:37] offset:32 glc
	global_load_dwordx2 v[2:3], v6, s[36:37] offset:40
	v_mov_b32_e32 v11, s6
	v_mov_b32_e32 v12, s7
	s_waitcnt vmcnt(0)
	v_readfirstlane_b32 s16, v2
	v_readfirstlane_b32 s17, v3
	s_and_b64 s[16:17], s[16:17], s[6:7]
	s_mul_i32 s15, s17, 24
	s_mul_hi_u32 s17, s16, 24
	s_mul_i32 s16, s16, 24
	s_add_i32 s15, s17, s15
	v_mov_b32_e32 v2, s15
	v_add_co_u32_e32 v4, vcc, s16, v0
	v_addc_co_u32_e32 v5, vcc, v1, v2, vcc
	global_store_dwordx2 v[4:5], v[13:14], off
	s_waitcnt vmcnt(0)
	global_atomic_cmpswap_x2 v[2:3], v6, v[11:14], s[36:37] offset:32 glc
	s_waitcnt vmcnt(0)
	v_cmp_ne_u64_e32 vcc, v[2:3], v[13:14]
	s_and_saveexec_b64 s[16:17], vcc
	s_cbranch_execz .LBB3_1580
; %bb.1578:
	s_mov_b64 s[18:19], 0
.LBB3_1579:                             ; =>This Inner Loop Header: Depth=1
	s_sleep 1
	global_store_dwordx2 v[4:5], v[2:3], off
	v_mov_b32_e32 v0, s6
	v_mov_b32_e32 v1, s7
	s_waitcnt vmcnt(0)
	global_atomic_cmpswap_x2 v[0:1], v6, v[0:3], s[36:37] offset:32 glc
	s_waitcnt vmcnt(0)
	v_cmp_eq_u64_e32 vcc, v[0:1], v[2:3]
	v_mov_b32_e32 v3, v1
	s_or_b64 s[18:19], vcc, s[18:19]
	v_mov_b32_e32 v2, v0
	s_andn2_b64 exec, exec, s[18:19]
	s_cbranch_execnz .LBB3_1579
.LBB3_1580:
	s_or_b64 exec, exec, s[16:17]
	v_mov_b32_e32 v3, 0
	global_load_dwordx2 v[0:1], v3, s[36:37] offset:16
	s_mov_b64 s[16:17], exec
	v_mbcnt_lo_u32_b32 v2, s16, 0
	v_mbcnt_hi_u32_b32 v2, s17, v2
	v_cmp_eq_u32_e32 vcc, 0, v2
	s_and_saveexec_b64 s[18:19], vcc
	s_cbranch_execz .LBB3_1582
; %bb.1581:
	s_bcnt1_i32_b64 s15, s[16:17]
	v_mov_b32_e32 v2, s15
	s_waitcnt vmcnt(0)
	global_atomic_add_x2 v[0:1], v[2:3], off offset:8
.LBB3_1582:
	s_or_b64 exec, exec, s[18:19]
	s_waitcnt vmcnt(0)
	global_load_dwordx2 v[2:3], v[0:1], off offset:16
	s_waitcnt vmcnt(0)
	v_cmp_eq_u64_e32 vcc, 0, v[2:3]
	s_cbranch_vccnz .LBB3_1584
; %bb.1583:
	global_load_dword v0, v[0:1], off offset:24
	v_mov_b32_e32 v1, 0
	s_waitcnt vmcnt(0)
	global_store_dwordx2 v[2:3], v[0:1], off
	v_and_b32_e32 v0, 0xffffff, v0
	v_readfirstlane_b32 m0, v0
	s_sendmsg sendmsg(MSG_INTERRUPT)
.LBB3_1584:
	s_or_b64 exec, exec, s[10:11]
	s_branch .LBB3_1588
.LBB3_1585:                             ;   in Loop: Header=BB3_1588 Depth=1
	s_or_b64 exec, exec, s[10:11]
	v_readfirstlane_b32 s10, v0
	s_cmp_eq_u32 s10, 0
	s_cbranch_scc1 .LBB3_1587
; %bb.1586:                             ;   in Loop: Header=BB3_1588 Depth=1
	s_sleep 1
	s_cbranch_execnz .LBB3_1588
	s_branch .LBB3_1590
.LBB3_1587:
	s_branch .LBB3_1590
.LBB3_1588:                             ; =>This Inner Loop Header: Depth=1
	v_mov_b32_e32 v0, 1
	s_and_saveexec_b64 s[10:11], s[4:5]
	s_cbranch_execz .LBB3_1585
; %bb.1589:                             ;   in Loop: Header=BB3_1588 Depth=1
	global_load_dword v0, v[7:8], off offset:20 glc
	s_waitcnt vmcnt(0)
	buffer_wbinvl1_vol
	v_and_b32_e32 v0, 1, v0
	s_branch .LBB3_1585
.LBB3_1590:
	global_load_dwordx2 v[0:1], v[9:10], off
	s_and_saveexec_b64 s[10:11], s[4:5]
	s_cbranch_execz .LBB3_1593
; %bb.1591:
	v_mov_b32_e32 v8, 0
	global_load_dwordx2 v[4:5], v8, s[36:37] offset:40
	global_load_dwordx2 v[9:10], v8, s[36:37] offset:24 glc
	global_load_dwordx2 v[6:7], v8, s[36:37]
	v_mov_b32_e32 v3, s7
	s_mov_b64 s[4:5], 0
	s_waitcnt vmcnt(2)
	v_add_co_u32_e32 v11, vcc, 1, v4
	v_addc_co_u32_e32 v12, vcc, 0, v5, vcc
	v_add_co_u32_e32 v2, vcc, s6, v11
	v_addc_co_u32_e32 v3, vcc, v12, v3, vcc
	v_cmp_eq_u64_e32 vcc, 0, v[2:3]
	v_cndmask_b32_e32 v3, v3, v12, vcc
	v_cndmask_b32_e32 v2, v2, v11, vcc
	v_and_b32_e32 v5, v3, v5
	v_and_b32_e32 v4, v2, v4
	v_mul_lo_u32 v5, v5, 24
	v_mul_hi_u32 v11, v4, 24
	v_mul_lo_u32 v12, v4, 24
	s_waitcnt vmcnt(1)
	v_mov_b32_e32 v4, v9
	v_add_u32_e32 v5, v11, v5
	s_waitcnt vmcnt(0)
	v_add_co_u32_e32 v6, vcc, v6, v12
	v_addc_co_u32_e32 v7, vcc, v7, v5, vcc
	global_store_dwordx2 v[6:7], v[9:10], off
	v_mov_b32_e32 v5, v10
	s_waitcnt vmcnt(0)
	global_atomic_cmpswap_x2 v[4:5], v8, v[2:5], s[36:37] offset:24 glc
	s_waitcnt vmcnt(0)
	v_cmp_ne_u64_e32 vcc, v[4:5], v[9:10]
	s_and_b64 exec, exec, vcc
	s_cbranch_execz .LBB3_1593
.LBB3_1592:                             ; =>This Inner Loop Header: Depth=1
	s_sleep 1
	global_store_dwordx2 v[6:7], v[4:5], off
	s_waitcnt vmcnt(0)
	global_atomic_cmpswap_x2 v[9:10], v8, v[2:5], s[36:37] offset:24 glc
	s_waitcnt vmcnt(0)
	v_cmp_eq_u64_e32 vcc, v[9:10], v[4:5]
	v_mov_b32_e32 v4, v9
	s_or_b64 s[4:5], vcc, s[4:5]
	v_mov_b32_e32 v5, v10
	s_andn2_b64 exec, exec, s[4:5]
	s_cbranch_execnz .LBB3_1592
.LBB3_1593:
	s_or_b64 exec, exec, s[10:11]
	s_and_b64 vcc, exec, s[40:41]
	s_cbranch_vccz .LBB3_1678
; %bb.1594:
	s_waitcnt vmcnt(0)
	v_and_b32_e32 v31, 2, v0
	v_mov_b32_e32 v28, 0
	v_and_b32_e32 v2, -3, v0
	v_mov_b32_e32 v3, v1
	s_mov_b64 s[10:11], 3
	v_mov_b32_e32 v6, 2
	v_mov_b32_e32 v7, 1
	s_getpc_b64 s[6:7]
	s_add_u32 s6, s6, .str.6@rel32@lo+4
	s_addc_u32 s7, s7, .str.6@rel32@hi+12
	s_branch .LBB3_1596
.LBB3_1595:                             ;   in Loop: Header=BB3_1596 Depth=1
	s_or_b64 exec, exec, s[20:21]
	s_sub_u32 s10, s10, s16
	s_subb_u32 s11, s11, s17
	s_add_u32 s6, s6, s16
	s_addc_u32 s7, s7, s17
	s_cmp_lg_u64 s[10:11], 0
	s_cbranch_scc0 .LBB3_1677
.LBB3_1596:                             ; =>This Loop Header: Depth=1
                                        ;     Child Loop BB3_1599 Depth 2
                                        ;     Child Loop BB3_1606 Depth 2
	;; [unrolled: 1-line block ×11, first 2 shown]
	v_cmp_lt_u64_e64 s[4:5], s[10:11], 56
	v_cmp_gt_u64_e64 s[18:19], s[10:11], 7
	s_and_b64 s[4:5], s[4:5], exec
	s_cselect_b32 s17, s11, 0
	s_cselect_b32 s16, s10, 56
	s_and_b64 vcc, exec, s[18:19]
	s_cbranch_vccnz .LBB3_1601
; %bb.1597:                             ;   in Loop: Header=BB3_1596 Depth=1
	v_mov_b32_e32 v10, 0
	s_cmp_eq_u64 s[10:11], 0
	v_mov_b32_e32 v11, 0
	s_mov_b64 s[4:5], 0
	s_cbranch_scc1 .LBB3_1600
; %bb.1598:                             ;   in Loop: Header=BB3_1596 Depth=1
	v_mov_b32_e32 v10, 0
	s_lshl_b64 s[18:19], s[16:17], 3
	s_mov_b64 s[20:21], 0
	v_mov_b32_e32 v11, 0
	s_mov_b64 s[22:23], s[6:7]
.LBB3_1599:                             ;   Parent Loop BB3_1596 Depth=1
                                        ; =>  This Inner Loop Header: Depth=2
	global_load_ubyte v4, v28, s[22:23]
	s_waitcnt vmcnt(0)
	v_and_b32_e32 v27, 0xffff, v4
	v_lshlrev_b64 v[4:5], s20, v[27:28]
	s_add_u32 s20, s20, 8
	s_addc_u32 s21, s21, 0
	s_add_u32 s22, s22, 1
	s_addc_u32 s23, s23, 0
	v_or_b32_e32 v10, v4, v10
	s_cmp_lg_u32 s18, s20
	v_or_b32_e32 v11, v5, v11
	s_cbranch_scc1 .LBB3_1599
.LBB3_1600:                             ;   in Loop: Header=BB3_1596 Depth=1
	s_mov_b32 s15, 0
	s_andn2_b64 vcc, exec, s[4:5]
	s_mov_b64 s[4:5], s[6:7]
	s_cbranch_vccz .LBB3_1602
	s_branch .LBB3_1603
.LBB3_1601:                             ;   in Loop: Header=BB3_1596 Depth=1
                                        ; implicit-def: $vgpr10_vgpr11
                                        ; implicit-def: $sgpr15
	s_mov_b64 s[4:5], s[6:7]
.LBB3_1602:                             ;   in Loop: Header=BB3_1596 Depth=1
	global_load_dwordx2 v[10:11], v28, s[6:7]
	s_add_i32 s15, s16, -8
	s_add_u32 s4, s6, 8
	s_addc_u32 s5, s7, 0
.LBB3_1603:                             ;   in Loop: Header=BB3_1596 Depth=1
	s_cmp_gt_u32 s15, 7
	s_cbranch_scc1 .LBB3_1607
; %bb.1604:                             ;   in Loop: Header=BB3_1596 Depth=1
	s_cmp_eq_u32 s15, 0
	s_cbranch_scc1 .LBB3_1608
; %bb.1605:                             ;   in Loop: Header=BB3_1596 Depth=1
	v_mov_b32_e32 v12, 0
	s_mov_b64 s[18:19], 0
	v_mov_b32_e32 v13, 0
	s_mov_b64 s[20:21], 0
.LBB3_1606:                             ;   Parent Loop BB3_1596 Depth=1
                                        ; =>  This Inner Loop Header: Depth=2
	s_add_u32 s22, s4, s20
	s_addc_u32 s23, s5, s21
	global_load_ubyte v4, v28, s[22:23]
	s_add_u32 s20, s20, 1
	s_addc_u32 s21, s21, 0
	s_waitcnt vmcnt(0)
	v_and_b32_e32 v27, 0xffff, v4
	v_lshlrev_b64 v[4:5], s18, v[27:28]
	s_add_u32 s18, s18, 8
	s_addc_u32 s19, s19, 0
	v_or_b32_e32 v12, v4, v12
	s_cmp_lg_u32 s15, s20
	v_or_b32_e32 v13, v5, v13
	s_cbranch_scc1 .LBB3_1606
	s_branch .LBB3_1609
.LBB3_1607:                             ;   in Loop: Header=BB3_1596 Depth=1
                                        ; implicit-def: $vgpr12_vgpr13
                                        ; implicit-def: $sgpr22
	s_branch .LBB3_1610
.LBB3_1608:                             ;   in Loop: Header=BB3_1596 Depth=1
	v_mov_b32_e32 v12, 0
	v_mov_b32_e32 v13, 0
.LBB3_1609:                             ;   in Loop: Header=BB3_1596 Depth=1
	s_mov_b32 s22, 0
	s_cbranch_execnz .LBB3_1611
.LBB3_1610:                             ;   in Loop: Header=BB3_1596 Depth=1
	global_load_dwordx2 v[12:13], v28, s[4:5]
	s_add_i32 s22, s15, -8
	s_add_u32 s4, s4, 8
	s_addc_u32 s5, s5, 0
.LBB3_1611:                             ;   in Loop: Header=BB3_1596 Depth=1
	s_cmp_gt_u32 s22, 7
	s_cbranch_scc1 .LBB3_1615
; %bb.1612:                             ;   in Loop: Header=BB3_1596 Depth=1
	s_cmp_eq_u32 s22, 0
	s_cbranch_scc1 .LBB3_1616
; %bb.1613:                             ;   in Loop: Header=BB3_1596 Depth=1
	v_mov_b32_e32 v14, 0
	s_mov_b64 s[18:19], 0
	v_mov_b32_e32 v15, 0
	s_mov_b64 s[20:21], 0
.LBB3_1614:                             ;   Parent Loop BB3_1596 Depth=1
                                        ; =>  This Inner Loop Header: Depth=2
	s_add_u32 s24, s4, s20
	s_addc_u32 s25, s5, s21
	global_load_ubyte v4, v28, s[24:25]
	s_add_u32 s20, s20, 1
	s_addc_u32 s21, s21, 0
	s_waitcnt vmcnt(0)
	v_and_b32_e32 v27, 0xffff, v4
	v_lshlrev_b64 v[4:5], s18, v[27:28]
	s_add_u32 s18, s18, 8
	s_addc_u32 s19, s19, 0
	v_or_b32_e32 v14, v4, v14
	s_cmp_lg_u32 s22, s20
	v_or_b32_e32 v15, v5, v15
	s_cbranch_scc1 .LBB3_1614
	s_branch .LBB3_1617
.LBB3_1615:                             ;   in Loop: Header=BB3_1596 Depth=1
                                        ; implicit-def: $sgpr15
	s_branch .LBB3_1618
.LBB3_1616:                             ;   in Loop: Header=BB3_1596 Depth=1
	v_mov_b32_e32 v14, 0
	v_mov_b32_e32 v15, 0
.LBB3_1617:                             ;   in Loop: Header=BB3_1596 Depth=1
	s_mov_b32 s15, 0
	s_cbranch_execnz .LBB3_1619
.LBB3_1618:                             ;   in Loop: Header=BB3_1596 Depth=1
	global_load_dwordx2 v[14:15], v28, s[4:5]
	s_add_i32 s15, s22, -8
	s_add_u32 s4, s4, 8
	s_addc_u32 s5, s5, 0
.LBB3_1619:                             ;   in Loop: Header=BB3_1596 Depth=1
	s_cmp_gt_u32 s15, 7
	s_cbranch_scc1 .LBB3_1623
; %bb.1620:                             ;   in Loop: Header=BB3_1596 Depth=1
	s_cmp_eq_u32 s15, 0
	s_cbranch_scc1 .LBB3_1624
; %bb.1621:                             ;   in Loop: Header=BB3_1596 Depth=1
	v_mov_b32_e32 v16, 0
	s_mov_b64 s[18:19], 0
	v_mov_b32_e32 v17, 0
	s_mov_b64 s[20:21], 0
.LBB3_1622:                             ;   Parent Loop BB3_1596 Depth=1
                                        ; =>  This Inner Loop Header: Depth=2
	s_add_u32 s22, s4, s20
	s_addc_u32 s23, s5, s21
	global_load_ubyte v4, v28, s[22:23]
	s_add_u32 s20, s20, 1
	s_addc_u32 s21, s21, 0
	s_waitcnt vmcnt(0)
	v_and_b32_e32 v27, 0xffff, v4
	v_lshlrev_b64 v[4:5], s18, v[27:28]
	s_add_u32 s18, s18, 8
	s_addc_u32 s19, s19, 0
	v_or_b32_e32 v16, v4, v16
	s_cmp_lg_u32 s15, s20
	v_or_b32_e32 v17, v5, v17
	s_cbranch_scc1 .LBB3_1622
	s_branch .LBB3_1625
.LBB3_1623:                             ;   in Loop: Header=BB3_1596 Depth=1
                                        ; implicit-def: $vgpr16_vgpr17
                                        ; implicit-def: $sgpr22
	s_branch .LBB3_1626
.LBB3_1624:                             ;   in Loop: Header=BB3_1596 Depth=1
	v_mov_b32_e32 v16, 0
	v_mov_b32_e32 v17, 0
.LBB3_1625:                             ;   in Loop: Header=BB3_1596 Depth=1
	s_mov_b32 s22, 0
	s_cbranch_execnz .LBB3_1627
.LBB3_1626:                             ;   in Loop: Header=BB3_1596 Depth=1
	global_load_dwordx2 v[16:17], v28, s[4:5]
	s_add_i32 s22, s15, -8
	s_add_u32 s4, s4, 8
	s_addc_u32 s5, s5, 0
.LBB3_1627:                             ;   in Loop: Header=BB3_1596 Depth=1
	s_cmp_gt_u32 s22, 7
	s_cbranch_scc1 .LBB3_1631
; %bb.1628:                             ;   in Loop: Header=BB3_1596 Depth=1
	s_cmp_eq_u32 s22, 0
	s_cbranch_scc1 .LBB3_1632
; %bb.1629:                             ;   in Loop: Header=BB3_1596 Depth=1
	v_mov_b32_e32 v18, 0
	s_mov_b64 s[18:19], 0
	v_mov_b32_e32 v19, 0
	s_mov_b64 s[20:21], 0
.LBB3_1630:                             ;   Parent Loop BB3_1596 Depth=1
                                        ; =>  This Inner Loop Header: Depth=2
	s_add_u32 s24, s4, s20
	s_addc_u32 s25, s5, s21
	global_load_ubyte v4, v28, s[24:25]
	s_add_u32 s20, s20, 1
	s_addc_u32 s21, s21, 0
	s_waitcnt vmcnt(0)
	v_and_b32_e32 v27, 0xffff, v4
	v_lshlrev_b64 v[4:5], s18, v[27:28]
	s_add_u32 s18, s18, 8
	s_addc_u32 s19, s19, 0
	v_or_b32_e32 v18, v4, v18
	s_cmp_lg_u32 s22, s20
	v_or_b32_e32 v19, v5, v19
	s_cbranch_scc1 .LBB3_1630
	s_branch .LBB3_1633
.LBB3_1631:                             ;   in Loop: Header=BB3_1596 Depth=1
                                        ; implicit-def: $sgpr15
	s_branch .LBB3_1634
.LBB3_1632:                             ;   in Loop: Header=BB3_1596 Depth=1
	v_mov_b32_e32 v18, 0
	v_mov_b32_e32 v19, 0
.LBB3_1633:                             ;   in Loop: Header=BB3_1596 Depth=1
	s_mov_b32 s15, 0
	s_cbranch_execnz .LBB3_1635
.LBB3_1634:                             ;   in Loop: Header=BB3_1596 Depth=1
	global_load_dwordx2 v[18:19], v28, s[4:5]
	s_add_i32 s15, s22, -8
	s_add_u32 s4, s4, 8
	s_addc_u32 s5, s5, 0
.LBB3_1635:                             ;   in Loop: Header=BB3_1596 Depth=1
	s_cmp_gt_u32 s15, 7
	s_cbranch_scc1 .LBB3_1639
; %bb.1636:                             ;   in Loop: Header=BB3_1596 Depth=1
	s_cmp_eq_u32 s15, 0
	s_cbranch_scc1 .LBB3_1640
; %bb.1637:                             ;   in Loop: Header=BB3_1596 Depth=1
	v_mov_b32_e32 v20, 0
	s_mov_b64 s[18:19], 0
	v_mov_b32_e32 v21, 0
	s_mov_b64 s[20:21], 0
.LBB3_1638:                             ;   Parent Loop BB3_1596 Depth=1
                                        ; =>  This Inner Loop Header: Depth=2
	s_add_u32 s22, s4, s20
	s_addc_u32 s23, s5, s21
	global_load_ubyte v4, v28, s[22:23]
	s_add_u32 s20, s20, 1
	s_addc_u32 s21, s21, 0
	s_waitcnt vmcnt(0)
	v_and_b32_e32 v27, 0xffff, v4
	v_lshlrev_b64 v[4:5], s18, v[27:28]
	s_add_u32 s18, s18, 8
	s_addc_u32 s19, s19, 0
	v_or_b32_e32 v20, v4, v20
	s_cmp_lg_u32 s15, s20
	v_or_b32_e32 v21, v5, v21
	s_cbranch_scc1 .LBB3_1638
	s_branch .LBB3_1641
.LBB3_1639:                             ;   in Loop: Header=BB3_1596 Depth=1
                                        ; implicit-def: $vgpr20_vgpr21
                                        ; implicit-def: $sgpr22
	s_branch .LBB3_1642
.LBB3_1640:                             ;   in Loop: Header=BB3_1596 Depth=1
	v_mov_b32_e32 v20, 0
	v_mov_b32_e32 v21, 0
.LBB3_1641:                             ;   in Loop: Header=BB3_1596 Depth=1
	s_mov_b32 s22, 0
	s_cbranch_execnz .LBB3_1643
.LBB3_1642:                             ;   in Loop: Header=BB3_1596 Depth=1
	global_load_dwordx2 v[20:21], v28, s[4:5]
	s_add_i32 s22, s15, -8
	s_add_u32 s4, s4, 8
	s_addc_u32 s5, s5, 0
.LBB3_1643:                             ;   in Loop: Header=BB3_1596 Depth=1
	s_cmp_gt_u32 s22, 7
	s_cbranch_scc1 .LBB3_1647
; %bb.1644:                             ;   in Loop: Header=BB3_1596 Depth=1
	s_cmp_eq_u32 s22, 0
	s_cbranch_scc1 .LBB3_1648
; %bb.1645:                             ;   in Loop: Header=BB3_1596 Depth=1
	v_mov_b32_e32 v22, 0
	s_mov_b64 s[18:19], 0
	v_mov_b32_e32 v23, 0
	s_mov_b64 s[20:21], s[4:5]
.LBB3_1646:                             ;   Parent Loop BB3_1596 Depth=1
                                        ; =>  This Inner Loop Header: Depth=2
	global_load_ubyte v4, v28, s[20:21]
	s_add_i32 s22, s22, -1
	s_waitcnt vmcnt(0)
	v_and_b32_e32 v27, 0xffff, v4
	v_lshlrev_b64 v[4:5], s18, v[27:28]
	s_add_u32 s18, s18, 8
	s_addc_u32 s19, s19, 0
	s_add_u32 s20, s20, 1
	s_addc_u32 s21, s21, 0
	v_or_b32_e32 v22, v4, v22
	s_cmp_lg_u32 s22, 0
	v_or_b32_e32 v23, v5, v23
	s_cbranch_scc1 .LBB3_1646
	s_branch .LBB3_1649
.LBB3_1647:                             ;   in Loop: Header=BB3_1596 Depth=1
	s_branch .LBB3_1650
.LBB3_1648:                             ;   in Loop: Header=BB3_1596 Depth=1
	v_mov_b32_e32 v22, 0
	v_mov_b32_e32 v23, 0
.LBB3_1649:                             ;   in Loop: Header=BB3_1596 Depth=1
	s_cbranch_execnz .LBB3_1651
.LBB3_1650:                             ;   in Loop: Header=BB3_1596 Depth=1
	global_load_dwordx2 v[22:23], v28, s[4:5]
.LBB3_1651:                             ;   in Loop: Header=BB3_1596 Depth=1
	v_readfirstlane_b32 s4, v50
	s_waitcnt vmcnt(0)
	v_mov_b32_e32 v4, 0
	v_mov_b32_e32 v5, 0
	v_cmp_eq_u32_e64 s[4:5], s4, v50
	s_and_saveexec_b64 s[18:19], s[4:5]
	s_cbranch_execz .LBB3_1657
; %bb.1652:                             ;   in Loop: Header=BB3_1596 Depth=1
	global_load_dwordx2 v[26:27], v28, s[36:37] offset:24 glc
	s_waitcnt vmcnt(0)
	buffer_wbinvl1_vol
	global_load_dwordx2 v[4:5], v28, s[36:37] offset:40
	global_load_dwordx2 v[8:9], v28, s[36:37]
	s_waitcnt vmcnt(1)
	v_and_b32_e32 v4, v4, v26
	v_and_b32_e32 v5, v5, v27
	v_mul_lo_u32 v5, v5, 24
	v_mul_hi_u32 v24, v4, 24
	v_mul_lo_u32 v4, v4, 24
	v_add_u32_e32 v5, v24, v5
	s_waitcnt vmcnt(0)
	v_add_co_u32_e32 v4, vcc, v8, v4
	v_addc_co_u32_e32 v5, vcc, v9, v5, vcc
	global_load_dwordx2 v[24:25], v[4:5], off glc
	s_waitcnt vmcnt(0)
	global_atomic_cmpswap_x2 v[4:5], v28, v[24:27], s[36:37] offset:24 glc
	s_waitcnt vmcnt(0)
	buffer_wbinvl1_vol
	v_cmp_ne_u64_e32 vcc, v[4:5], v[26:27]
	s_and_saveexec_b64 s[20:21], vcc
	s_cbranch_execz .LBB3_1656
; %bb.1653:                             ;   in Loop: Header=BB3_1596 Depth=1
	s_mov_b64 s[22:23], 0
.LBB3_1654:                             ;   Parent Loop BB3_1596 Depth=1
                                        ; =>  This Inner Loop Header: Depth=2
	s_sleep 1
	global_load_dwordx2 v[8:9], v28, s[36:37] offset:40
	global_load_dwordx2 v[24:25], v28, s[36:37]
	v_mov_b32_e32 v27, v5
	v_mov_b32_e32 v26, v4
	s_waitcnt vmcnt(1)
	v_and_b32_e32 v4, v8, v26
	s_waitcnt vmcnt(0)
	v_mad_u64_u32 v[4:5], s[24:25], v4, 24, v[24:25]
	v_and_b32_e32 v8, v9, v27
	v_mad_u64_u32 v[8:9], s[24:25], v8, 24, v[5:6]
	v_mov_b32_e32 v5, v8
	global_load_dwordx2 v[24:25], v[4:5], off glc
	s_waitcnt vmcnt(0)
	global_atomic_cmpswap_x2 v[4:5], v28, v[24:27], s[36:37] offset:24 glc
	s_waitcnt vmcnt(0)
	buffer_wbinvl1_vol
	v_cmp_eq_u64_e32 vcc, v[4:5], v[26:27]
	s_or_b64 s[22:23], vcc, s[22:23]
	s_andn2_b64 exec, exec, s[22:23]
	s_cbranch_execnz .LBB3_1654
; %bb.1655:                             ;   in Loop: Header=BB3_1596 Depth=1
	s_or_b64 exec, exec, s[22:23]
.LBB3_1656:                             ;   in Loop: Header=BB3_1596 Depth=1
	s_or_b64 exec, exec, s[20:21]
.LBB3_1657:                             ;   in Loop: Header=BB3_1596 Depth=1
	s_or_b64 exec, exec, s[18:19]
	global_load_dwordx2 v[8:9], v28, s[36:37] offset:40
	global_load_dwordx4 v[24:27], v28, s[36:37]
	v_readfirstlane_b32 s18, v4
	v_readfirstlane_b32 s19, v5
	s_mov_b64 s[20:21], exec
	s_waitcnt vmcnt(1)
	v_readfirstlane_b32 s22, v8
	v_readfirstlane_b32 s23, v9
	s_and_b64 s[22:23], s[18:19], s[22:23]
	s_mul_i32 s15, s23, 24
	s_mul_hi_u32 s24, s22, 24
	s_mul_i32 s25, s22, 24
	s_add_i32 s15, s24, s15
	v_mov_b32_e32 v4, s15
	s_waitcnt vmcnt(0)
	v_add_co_u32_e32 v29, vcc, s25, v24
	v_addc_co_u32_e32 v30, vcc, v25, v4, vcc
	s_and_saveexec_b64 s[24:25], s[4:5]
	s_cbranch_execz .LBB3_1659
; %bb.1658:                             ;   in Loop: Header=BB3_1596 Depth=1
	v_mov_b32_e32 v4, s20
	v_mov_b32_e32 v5, s21
	global_store_dwordx4 v[29:30], v[4:7], off offset:8
.LBB3_1659:                             ;   in Loop: Header=BB3_1596 Depth=1
	s_or_b64 exec, exec, s[24:25]
	s_lshl_b64 s[20:21], s[22:23], 12
	v_mov_b32_e32 v4, s21
	v_add_co_u32_e32 v26, vcc, s20, v26
	v_addc_co_u32_e32 v32, vcc, v27, v4, vcc
	v_cmp_gt_u64_e64 vcc, s[10:11], 56
	v_or_b32_e32 v5, v2, v31
	s_lshl_b32 s15, s16, 2
	v_cndmask_b32_e32 v2, v5, v2, vcc
	s_add_i32 s15, s15, 28
	v_or_b32_e32 v4, 0, v3
	s_and_b32 s15, s15, 0x1e0
	v_and_b32_e32 v2, 0xffffff1f, v2
	v_cndmask_b32_e32 v9, v4, v3, vcc
	v_or_b32_e32 v8, s15, v2
	v_readfirstlane_b32 s20, v26
	v_readfirstlane_b32 s21, v32
	s_nop 4
	global_store_dwordx4 v39, v[8:11], s[20:21]
	global_store_dwordx4 v39, v[12:15], s[20:21] offset:16
	global_store_dwordx4 v39, v[16:19], s[20:21] offset:32
	;; [unrolled: 1-line block ×3, first 2 shown]
	s_and_saveexec_b64 s[20:21], s[4:5]
	s_cbranch_execz .LBB3_1667
; %bb.1660:                             ;   in Loop: Header=BB3_1596 Depth=1
	global_load_dwordx2 v[12:13], v28, s[36:37] offset:32 glc
	global_load_dwordx2 v[2:3], v28, s[36:37] offset:40
	v_mov_b32_e32 v10, s18
	v_mov_b32_e32 v11, s19
	s_waitcnt vmcnt(0)
	v_readfirstlane_b32 s22, v2
	v_readfirstlane_b32 s23, v3
	s_and_b64 s[22:23], s[22:23], s[18:19]
	s_mul_i32 s15, s23, 24
	s_mul_hi_u32 s23, s22, 24
	s_mul_i32 s22, s22, 24
	s_add_i32 s15, s23, s15
	v_mov_b32_e32 v2, s15
	v_add_co_u32_e32 v8, vcc, s22, v24
	v_addc_co_u32_e32 v9, vcc, v25, v2, vcc
	global_store_dwordx2 v[8:9], v[12:13], off
	s_waitcnt vmcnt(0)
	global_atomic_cmpswap_x2 v[4:5], v28, v[10:13], s[36:37] offset:32 glc
	s_waitcnt vmcnt(0)
	v_cmp_ne_u64_e32 vcc, v[4:5], v[12:13]
	s_and_saveexec_b64 s[22:23], vcc
	s_cbranch_execz .LBB3_1663
; %bb.1661:                             ;   in Loop: Header=BB3_1596 Depth=1
	s_mov_b64 s[24:25], 0
.LBB3_1662:                             ;   Parent Loop BB3_1596 Depth=1
                                        ; =>  This Inner Loop Header: Depth=2
	s_sleep 1
	global_store_dwordx2 v[8:9], v[4:5], off
	v_mov_b32_e32 v2, s18
	v_mov_b32_e32 v3, s19
	s_waitcnt vmcnt(0)
	global_atomic_cmpswap_x2 v[2:3], v28, v[2:5], s[36:37] offset:32 glc
	s_waitcnt vmcnt(0)
	v_cmp_eq_u64_e32 vcc, v[2:3], v[4:5]
	v_mov_b32_e32 v5, v3
	s_or_b64 s[24:25], vcc, s[24:25]
	v_mov_b32_e32 v4, v2
	s_andn2_b64 exec, exec, s[24:25]
	s_cbranch_execnz .LBB3_1662
.LBB3_1663:                             ;   in Loop: Header=BB3_1596 Depth=1
	s_or_b64 exec, exec, s[22:23]
	global_load_dwordx2 v[2:3], v28, s[36:37] offset:16
	s_mov_b64 s[24:25], exec
	v_mbcnt_lo_u32_b32 v4, s24, 0
	v_mbcnt_hi_u32_b32 v4, s25, v4
	v_cmp_eq_u32_e32 vcc, 0, v4
	s_and_saveexec_b64 s[22:23], vcc
	s_cbranch_execz .LBB3_1665
; %bb.1664:                             ;   in Loop: Header=BB3_1596 Depth=1
	s_bcnt1_i32_b64 s15, s[24:25]
	v_mov_b32_e32 v27, s15
	s_waitcnt vmcnt(0)
	global_atomic_add_x2 v[2:3], v[27:28], off offset:8
.LBB3_1665:                             ;   in Loop: Header=BB3_1596 Depth=1
	s_or_b64 exec, exec, s[22:23]
	s_waitcnt vmcnt(0)
	global_load_dwordx2 v[4:5], v[2:3], off offset:16
	s_waitcnt vmcnt(0)
	v_cmp_eq_u64_e32 vcc, 0, v[4:5]
	s_cbranch_vccnz .LBB3_1667
; %bb.1666:                             ;   in Loop: Header=BB3_1596 Depth=1
	global_load_dword v27, v[2:3], off offset:24
	s_waitcnt vmcnt(0)
	v_and_b32_e32 v2, 0xffffff, v27
	v_readfirstlane_b32 m0, v2
	global_store_dwordx2 v[4:5], v[27:28], off
	s_sendmsg sendmsg(MSG_INTERRUPT)
.LBB3_1667:                             ;   in Loop: Header=BB3_1596 Depth=1
	s_or_b64 exec, exec, s[20:21]
	v_add_co_u32_e32 v2, vcc, v26, v39
	v_addc_co_u32_e32 v3, vcc, 0, v32, vcc
	s_branch .LBB3_1671
.LBB3_1668:                             ;   in Loop: Header=BB3_1671 Depth=2
	s_or_b64 exec, exec, s[20:21]
	v_readfirstlane_b32 s15, v4
	s_cmp_eq_u32 s15, 0
	s_cbranch_scc1 .LBB3_1670
; %bb.1669:                             ;   in Loop: Header=BB3_1671 Depth=2
	s_sleep 1
	s_cbranch_execnz .LBB3_1671
	s_branch .LBB3_1673
.LBB3_1670:                             ;   in Loop: Header=BB3_1596 Depth=1
	s_branch .LBB3_1673
.LBB3_1671:                             ;   Parent Loop BB3_1596 Depth=1
                                        ; =>  This Inner Loop Header: Depth=2
	v_mov_b32_e32 v4, 1
	s_and_saveexec_b64 s[20:21], s[4:5]
	s_cbranch_execz .LBB3_1668
; %bb.1672:                             ;   in Loop: Header=BB3_1671 Depth=2
	global_load_dword v4, v[29:30], off offset:20 glc
	s_waitcnt vmcnt(0)
	buffer_wbinvl1_vol
	v_and_b32_e32 v4, 1, v4
	s_branch .LBB3_1668
.LBB3_1673:                             ;   in Loop: Header=BB3_1596 Depth=1
	global_load_dwordx4 v[2:5], v[2:3], off
	s_and_saveexec_b64 s[20:21], s[4:5]
	s_cbranch_execz .LBB3_1595
; %bb.1674:                             ;   in Loop: Header=BB3_1596 Depth=1
	global_load_dwordx2 v[4:5], v28, s[36:37] offset:40
	global_load_dwordx2 v[12:13], v28, s[36:37] offset:24 glc
	global_load_dwordx2 v[14:15], v28, s[36:37]
	v_mov_b32_e32 v9, s19
	s_waitcnt vmcnt(2)
	v_add_co_u32_e32 v10, vcc, 1, v4
	v_addc_co_u32_e32 v11, vcc, 0, v5, vcc
	v_add_co_u32_e32 v8, vcc, s18, v10
	v_addc_co_u32_e32 v9, vcc, v11, v9, vcc
	v_cmp_eq_u64_e32 vcc, 0, v[8:9]
	v_cndmask_b32_e32 v9, v9, v11, vcc
	v_cndmask_b32_e32 v8, v8, v10, vcc
	v_and_b32_e32 v5, v9, v5
	v_and_b32_e32 v4, v8, v4
	v_mul_lo_u32 v5, v5, 24
	v_mul_hi_u32 v11, v4, 24
	v_mul_lo_u32 v4, v4, 24
	s_waitcnt vmcnt(1)
	v_mov_b32_e32 v10, v12
	v_add_u32_e32 v5, v11, v5
	s_waitcnt vmcnt(0)
	v_add_co_u32_e32 v4, vcc, v14, v4
	v_addc_co_u32_e32 v5, vcc, v15, v5, vcc
	global_store_dwordx2 v[4:5], v[12:13], off
	v_mov_b32_e32 v11, v13
	s_waitcnt vmcnt(0)
	global_atomic_cmpswap_x2 v[10:11], v28, v[8:11], s[36:37] offset:24 glc
	s_waitcnt vmcnt(0)
	v_cmp_ne_u64_e32 vcc, v[10:11], v[12:13]
	s_and_b64 exec, exec, vcc
	s_cbranch_execz .LBB3_1595
; %bb.1675:                             ;   in Loop: Header=BB3_1596 Depth=1
	s_mov_b64 s[4:5], 0
.LBB3_1676:                             ;   Parent Loop BB3_1596 Depth=1
                                        ; =>  This Inner Loop Header: Depth=2
	s_sleep 1
	global_store_dwordx2 v[4:5], v[10:11], off
	s_waitcnt vmcnt(0)
	global_atomic_cmpswap_x2 v[12:13], v28, v[8:11], s[36:37] offset:24 glc
	s_waitcnt vmcnt(0)
	v_cmp_eq_u64_e32 vcc, v[12:13], v[10:11]
	v_mov_b32_e32 v10, v12
	s_or_b64 s[4:5], vcc, s[4:5]
	v_mov_b32_e32 v11, v13
	s_andn2_b64 exec, exec, s[4:5]
	s_cbranch_execnz .LBB3_1676
	s_branch .LBB3_1595
.LBB3_1677:
	s_branch .LBB3_1705
.LBB3_1678:
                                        ; implicit-def: $vgpr2_vgpr3
	s_cbranch_execz .LBB3_1705
; %bb.1679:
	v_readfirstlane_b32 s4, v50
	v_mov_b32_e32 v8, 0
	v_mov_b32_e32 v9, 0
	v_cmp_eq_u32_e64 s[4:5], s4, v50
	s_and_saveexec_b64 s[6:7], s[4:5]
	s_cbranch_execz .LBB3_1685
; %bb.1680:
	s_waitcnt vmcnt(0)
	v_mov_b32_e32 v2, 0
	global_load_dwordx2 v[5:6], v2, s[36:37] offset:24 glc
	s_waitcnt vmcnt(0)
	buffer_wbinvl1_vol
	global_load_dwordx2 v[3:4], v2, s[36:37] offset:40
	global_load_dwordx2 v[7:8], v2, s[36:37]
	s_waitcnt vmcnt(1)
	v_and_b32_e32 v3, v3, v5
	v_and_b32_e32 v4, v4, v6
	v_mul_lo_u32 v4, v4, 24
	v_mul_hi_u32 v9, v3, 24
	v_mul_lo_u32 v3, v3, 24
	v_add_u32_e32 v4, v9, v4
	s_waitcnt vmcnt(0)
	v_add_co_u32_e32 v3, vcc, v7, v3
	v_addc_co_u32_e32 v4, vcc, v8, v4, vcc
	global_load_dwordx2 v[3:4], v[3:4], off glc
	s_waitcnt vmcnt(0)
	global_atomic_cmpswap_x2 v[8:9], v2, v[3:6], s[36:37] offset:24 glc
	s_waitcnt vmcnt(0)
	buffer_wbinvl1_vol
	v_cmp_ne_u64_e32 vcc, v[8:9], v[5:6]
	s_and_saveexec_b64 s[10:11], vcc
	s_cbranch_execz .LBB3_1684
; %bb.1681:
	s_mov_b64 s[16:17], 0
.LBB3_1682:                             ; =>This Inner Loop Header: Depth=1
	s_sleep 1
	global_load_dwordx2 v[3:4], v2, s[36:37] offset:40
	global_load_dwordx2 v[10:11], v2, s[36:37]
	v_mov_b32_e32 v5, v8
	v_mov_b32_e32 v6, v9
	s_waitcnt vmcnt(1)
	v_and_b32_e32 v3, v3, v5
	s_waitcnt vmcnt(0)
	v_mad_u64_u32 v[7:8], s[18:19], v3, 24, v[10:11]
	v_and_b32_e32 v4, v4, v6
	v_mov_b32_e32 v3, v8
	v_mad_u64_u32 v[3:4], s[18:19], v4, 24, v[3:4]
	v_mov_b32_e32 v8, v3
	global_load_dwordx2 v[3:4], v[7:8], off glc
	s_waitcnt vmcnt(0)
	global_atomic_cmpswap_x2 v[8:9], v2, v[3:6], s[36:37] offset:24 glc
	s_waitcnt vmcnt(0)
	buffer_wbinvl1_vol
	v_cmp_eq_u64_e32 vcc, v[8:9], v[5:6]
	s_or_b64 s[16:17], vcc, s[16:17]
	s_andn2_b64 exec, exec, s[16:17]
	s_cbranch_execnz .LBB3_1682
; %bb.1683:
	s_or_b64 exec, exec, s[16:17]
.LBB3_1684:
	s_or_b64 exec, exec, s[10:11]
.LBB3_1685:
	s_or_b64 exec, exec, s[6:7]
	s_waitcnt vmcnt(0)
	v_mov_b32_e32 v2, 0
	global_load_dwordx2 v[10:11], v2, s[36:37] offset:40
	global_load_dwordx4 v[4:7], v2, s[36:37]
	v_readfirstlane_b32 s6, v8
	v_readfirstlane_b32 s7, v9
	s_mov_b64 s[10:11], exec
	s_waitcnt vmcnt(1)
	v_readfirstlane_b32 s16, v10
	v_readfirstlane_b32 s17, v11
	s_and_b64 s[16:17], s[6:7], s[16:17]
	s_mul_i32 s15, s17, 24
	s_mul_hi_u32 s18, s16, 24
	s_mul_i32 s19, s16, 24
	s_add_i32 s15, s18, s15
	v_mov_b32_e32 v3, s15
	s_waitcnt vmcnt(0)
	v_add_co_u32_e32 v8, vcc, s19, v4
	v_addc_co_u32_e32 v9, vcc, v5, v3, vcc
	s_and_saveexec_b64 s[18:19], s[4:5]
	s_cbranch_execz .LBB3_1687
; %bb.1686:
	v_mov_b32_e32 v10, s10
	v_mov_b32_e32 v11, s11
	v_mov_b32_e32 v12, 2
	v_mov_b32_e32 v13, 1
	global_store_dwordx4 v[8:9], v[10:13], off offset:8
.LBB3_1687:
	s_or_b64 exec, exec, s[18:19]
	s_lshl_b64 s[10:11], s[16:17], 12
	v_mov_b32_e32 v3, s11
	v_add_co_u32_e32 v10, vcc, s10, v6
	v_addc_co_u32_e32 v11, vcc, v7, v3, vcc
	s_movk_i32 s10, 0xff1f
	v_and_or_b32 v0, v0, s10, 32
	s_mov_b32 s16, 0
	v_mov_b32_e32 v3, v2
	v_readfirstlane_b32 s10, v10
	v_readfirstlane_b32 s11, v11
	v_add_co_u32_e32 v6, vcc, v10, v39
	s_mov_b32 s17, s16
	s_mov_b32 s18, s16
	s_mov_b32 s19, s16
	s_nop 0
	global_store_dwordx4 v39, v[0:3], s[10:11]
	v_addc_co_u32_e32 v7, vcc, 0, v11, vcc
	v_mov_b32_e32 v0, s16
	v_mov_b32_e32 v1, s17
	;; [unrolled: 1-line block ×4, first 2 shown]
	global_store_dwordx4 v39, v[0:3], s[10:11] offset:16
	global_store_dwordx4 v39, v[0:3], s[10:11] offset:32
	;; [unrolled: 1-line block ×3, first 2 shown]
	s_and_saveexec_b64 s[10:11], s[4:5]
	s_cbranch_execz .LBB3_1695
; %bb.1688:
	v_mov_b32_e32 v10, 0
	global_load_dwordx2 v[13:14], v10, s[36:37] offset:32 glc
	global_load_dwordx2 v[0:1], v10, s[36:37] offset:40
	v_mov_b32_e32 v11, s6
	v_mov_b32_e32 v12, s7
	s_waitcnt vmcnt(0)
	v_readfirstlane_b32 s16, v0
	v_readfirstlane_b32 s17, v1
	s_and_b64 s[16:17], s[16:17], s[6:7]
	s_mul_i32 s15, s17, 24
	s_mul_hi_u32 s17, s16, 24
	s_mul_i32 s16, s16, 24
	s_add_i32 s15, s17, s15
	v_mov_b32_e32 v0, s15
	v_add_co_u32_e32 v4, vcc, s16, v4
	v_addc_co_u32_e32 v5, vcc, v5, v0, vcc
	global_store_dwordx2 v[4:5], v[13:14], off
	s_waitcnt vmcnt(0)
	global_atomic_cmpswap_x2 v[2:3], v10, v[11:14], s[36:37] offset:32 glc
	s_waitcnt vmcnt(0)
	v_cmp_ne_u64_e32 vcc, v[2:3], v[13:14]
	s_and_saveexec_b64 s[16:17], vcc
	s_cbranch_execz .LBB3_1691
; %bb.1689:
	s_mov_b64 s[18:19], 0
.LBB3_1690:                             ; =>This Inner Loop Header: Depth=1
	s_sleep 1
	global_store_dwordx2 v[4:5], v[2:3], off
	v_mov_b32_e32 v0, s6
	v_mov_b32_e32 v1, s7
	s_waitcnt vmcnt(0)
	global_atomic_cmpswap_x2 v[0:1], v10, v[0:3], s[36:37] offset:32 glc
	s_waitcnt vmcnt(0)
	v_cmp_eq_u64_e32 vcc, v[0:1], v[2:3]
	v_mov_b32_e32 v3, v1
	s_or_b64 s[18:19], vcc, s[18:19]
	v_mov_b32_e32 v2, v0
	s_andn2_b64 exec, exec, s[18:19]
	s_cbranch_execnz .LBB3_1690
.LBB3_1691:
	s_or_b64 exec, exec, s[16:17]
	v_mov_b32_e32 v3, 0
	global_load_dwordx2 v[0:1], v3, s[36:37] offset:16
	s_mov_b64 s[16:17], exec
	v_mbcnt_lo_u32_b32 v2, s16, 0
	v_mbcnt_hi_u32_b32 v2, s17, v2
	v_cmp_eq_u32_e32 vcc, 0, v2
	s_and_saveexec_b64 s[18:19], vcc
	s_cbranch_execz .LBB3_1693
; %bb.1692:
	s_bcnt1_i32_b64 s15, s[16:17]
	v_mov_b32_e32 v2, s15
	s_waitcnt vmcnt(0)
	global_atomic_add_x2 v[0:1], v[2:3], off offset:8
.LBB3_1693:
	s_or_b64 exec, exec, s[18:19]
	s_waitcnt vmcnt(0)
	global_load_dwordx2 v[2:3], v[0:1], off offset:16
	s_waitcnt vmcnt(0)
	v_cmp_eq_u64_e32 vcc, 0, v[2:3]
	s_cbranch_vccnz .LBB3_1695
; %bb.1694:
	global_load_dword v0, v[0:1], off offset:24
	v_mov_b32_e32 v1, 0
	s_waitcnt vmcnt(0)
	global_store_dwordx2 v[2:3], v[0:1], off
	v_and_b32_e32 v0, 0xffffff, v0
	v_readfirstlane_b32 m0, v0
	s_sendmsg sendmsg(MSG_INTERRUPT)
.LBB3_1695:
	s_or_b64 exec, exec, s[10:11]
	s_branch .LBB3_1699
.LBB3_1696:                             ;   in Loop: Header=BB3_1699 Depth=1
	s_or_b64 exec, exec, s[10:11]
	v_readfirstlane_b32 s10, v0
	s_cmp_eq_u32 s10, 0
	s_cbranch_scc1 .LBB3_1698
; %bb.1697:                             ;   in Loop: Header=BB3_1699 Depth=1
	s_sleep 1
	s_cbranch_execnz .LBB3_1699
	s_branch .LBB3_1701
.LBB3_1698:
	s_branch .LBB3_1701
.LBB3_1699:                             ; =>This Inner Loop Header: Depth=1
	v_mov_b32_e32 v0, 1
	s_and_saveexec_b64 s[10:11], s[4:5]
	s_cbranch_execz .LBB3_1696
; %bb.1700:                             ;   in Loop: Header=BB3_1699 Depth=1
	global_load_dword v0, v[8:9], off offset:20 glc
	s_waitcnt vmcnt(0)
	buffer_wbinvl1_vol
	v_and_b32_e32 v0, 1, v0
	s_branch .LBB3_1696
.LBB3_1701:
	global_load_dwordx2 v[2:3], v[6:7], off
	s_and_saveexec_b64 s[10:11], s[4:5]
	s_cbranch_execz .LBB3_1704
; %bb.1702:
	v_mov_b32_e32 v8, 0
	global_load_dwordx2 v[0:1], v8, s[36:37] offset:40
	global_load_dwordx2 v[9:10], v8, s[36:37] offset:24 glc
	global_load_dwordx2 v[11:12], v8, s[36:37]
	v_mov_b32_e32 v5, s7
	s_mov_b64 s[4:5], 0
	s_waitcnt vmcnt(2)
	v_add_co_u32_e32 v6, vcc, 1, v0
	v_addc_co_u32_e32 v7, vcc, 0, v1, vcc
	v_add_co_u32_e32 v4, vcc, s6, v6
	v_addc_co_u32_e32 v5, vcc, v7, v5, vcc
	v_cmp_eq_u64_e32 vcc, 0, v[4:5]
	v_cndmask_b32_e32 v5, v5, v7, vcc
	v_cndmask_b32_e32 v4, v4, v6, vcc
	v_and_b32_e32 v1, v5, v1
	v_and_b32_e32 v0, v4, v0
	v_mul_lo_u32 v1, v1, 24
	v_mul_hi_u32 v7, v0, 24
	v_mul_lo_u32 v0, v0, 24
	s_waitcnt vmcnt(1)
	v_mov_b32_e32 v6, v9
	v_add_u32_e32 v1, v7, v1
	s_waitcnt vmcnt(0)
	v_add_co_u32_e32 v0, vcc, v11, v0
	v_addc_co_u32_e32 v1, vcc, v12, v1, vcc
	global_store_dwordx2 v[0:1], v[9:10], off
	v_mov_b32_e32 v7, v10
	s_waitcnt vmcnt(0)
	global_atomic_cmpswap_x2 v[6:7], v8, v[4:7], s[36:37] offset:24 glc
	s_waitcnt vmcnt(0)
	v_cmp_ne_u64_e32 vcc, v[6:7], v[9:10]
	s_and_b64 exec, exec, vcc
	s_cbranch_execz .LBB3_1704
.LBB3_1703:                             ; =>This Inner Loop Header: Depth=1
	s_sleep 1
	global_store_dwordx2 v[0:1], v[6:7], off
	s_waitcnt vmcnt(0)
	global_atomic_cmpswap_x2 v[9:10], v8, v[4:7], s[36:37] offset:24 glc
	s_waitcnt vmcnt(0)
	v_cmp_eq_u64_e32 vcc, v[9:10], v[6:7]
	v_mov_b32_e32 v6, v9
	s_or_b64 s[4:5], vcc, s[4:5]
	v_mov_b32_e32 v7, v10
	s_andn2_b64 exec, exec, s[4:5]
	s_cbranch_execnz .LBB3_1703
.LBB3_1704:
	s_or_b64 exec, exec, s[10:11]
.LBB3_1705:
	v_readfirstlane_b32 s4, v50
	s_waitcnt vmcnt(0)
	v_mov_b32_e32 v0, 0
	v_mov_b32_e32 v1, 0
	v_cmp_eq_u32_e64 s[4:5], s4, v50
	s_and_saveexec_b64 s[6:7], s[4:5]
	s_cbranch_execz .LBB3_1711
; %bb.1706:
	v_mov_b32_e32 v4, 0
	global_load_dwordx2 v[7:8], v4, s[36:37] offset:24 glc
	s_waitcnt vmcnt(0)
	buffer_wbinvl1_vol
	global_load_dwordx2 v[0:1], v4, s[36:37] offset:40
	global_load_dwordx2 v[5:6], v4, s[36:37]
	s_waitcnt vmcnt(1)
	v_and_b32_e32 v0, v0, v7
	v_and_b32_e32 v1, v1, v8
	v_mul_lo_u32 v1, v1, 24
	v_mul_hi_u32 v9, v0, 24
	v_mul_lo_u32 v0, v0, 24
	v_add_u32_e32 v1, v9, v1
	s_waitcnt vmcnt(0)
	v_add_co_u32_e32 v0, vcc, v5, v0
	v_addc_co_u32_e32 v1, vcc, v6, v1, vcc
	global_load_dwordx2 v[5:6], v[0:1], off glc
	s_waitcnt vmcnt(0)
	global_atomic_cmpswap_x2 v[0:1], v4, v[5:8], s[36:37] offset:24 glc
	s_waitcnt vmcnt(0)
	buffer_wbinvl1_vol
	v_cmp_ne_u64_e32 vcc, v[0:1], v[7:8]
	s_and_saveexec_b64 s[10:11], vcc
	s_cbranch_execz .LBB3_1710
; %bb.1707:
	s_mov_b64 s[16:17], 0
.LBB3_1708:                             ; =>This Inner Loop Header: Depth=1
	s_sleep 1
	global_load_dwordx2 v[5:6], v4, s[36:37] offset:40
	global_load_dwordx2 v[9:10], v4, s[36:37]
	v_mov_b32_e32 v8, v1
	v_mov_b32_e32 v7, v0
	s_waitcnt vmcnt(1)
	v_and_b32_e32 v0, v5, v7
	s_waitcnt vmcnt(0)
	v_mad_u64_u32 v[0:1], s[18:19], v0, 24, v[9:10]
	v_and_b32_e32 v5, v6, v8
	v_mad_u64_u32 v[5:6], s[18:19], v5, 24, v[1:2]
	v_mov_b32_e32 v1, v5
	global_load_dwordx2 v[5:6], v[0:1], off glc
	s_waitcnt vmcnt(0)
	global_atomic_cmpswap_x2 v[0:1], v4, v[5:8], s[36:37] offset:24 glc
	s_waitcnt vmcnt(0)
	buffer_wbinvl1_vol
	v_cmp_eq_u64_e32 vcc, v[0:1], v[7:8]
	s_or_b64 s[16:17], vcc, s[16:17]
	s_andn2_b64 exec, exec, s[16:17]
	s_cbranch_execnz .LBB3_1708
; %bb.1709:
	s_or_b64 exec, exec, s[16:17]
.LBB3_1710:
	s_or_b64 exec, exec, s[10:11]
.LBB3_1711:
	s_or_b64 exec, exec, s[6:7]
	v_mov_b32_e32 v5, 0
	global_load_dwordx2 v[10:11], v5, s[36:37] offset:40
	global_load_dwordx4 v[6:9], v5, s[36:37]
	v_readfirstlane_b32 s6, v0
	v_readfirstlane_b32 s7, v1
	s_mov_b64 s[10:11], exec
	s_waitcnt vmcnt(1)
	v_readfirstlane_b32 s16, v10
	v_readfirstlane_b32 s17, v11
	s_and_b64 s[16:17], s[6:7], s[16:17]
	s_mul_i32 s15, s17, 24
	s_mul_hi_u32 s18, s16, 24
	s_mul_i32 s19, s16, 24
	s_add_i32 s15, s18, s15
	v_mov_b32_e32 v0, s15
	s_waitcnt vmcnt(0)
	v_add_co_u32_e32 v10, vcc, s19, v6
	v_addc_co_u32_e32 v11, vcc, v7, v0, vcc
	s_and_saveexec_b64 s[18:19], s[4:5]
	s_cbranch_execz .LBB3_1713
; %bb.1712:
	v_mov_b32_e32 v13, s11
	v_mov_b32_e32 v12, s10
	;; [unrolled: 1-line block ×4, first 2 shown]
	global_store_dwordx4 v[10:11], v[12:15], off offset:8
.LBB3_1713:
	s_or_b64 exec, exec, s[18:19]
	s_lshl_b64 s[10:11], s[16:17], 12
	v_mov_b32_e32 v0, s11
	v_add_co_u32_e32 v1, vcc, s10, v8
	v_addc_co_u32_e32 v0, vcc, v9, v0, vcc
	s_movk_i32 s10, 0xff1d
	v_and_or_b32 v2, v2, s10, 34
	s_mov_b32 s16, 0
	v_mov_b32_e32 v4, 10
	v_readfirstlane_b32 s10, v1
	v_readfirstlane_b32 s11, v0
	s_mov_b32 s17, s16
	s_mov_b32 s18, s16
	;; [unrolled: 1-line block ×3, first 2 shown]
	s_nop 1
	global_store_dwordx4 v39, v[2:5], s[10:11]
	v_mov_b32_e32 v0, s16
	v_mov_b32_e32 v1, s17
	v_mov_b32_e32 v2, s18
	v_mov_b32_e32 v3, s19
	global_store_dwordx4 v39, v[0:3], s[10:11] offset:16
	global_store_dwordx4 v39, v[0:3], s[10:11] offset:32
	;; [unrolled: 1-line block ×3, first 2 shown]
	s_and_saveexec_b64 s[10:11], s[4:5]
	s_cbranch_execz .LBB3_1721
; %bb.1714:
	v_mov_b32_e32 v8, 0
	global_load_dwordx2 v[14:15], v8, s[36:37] offset:32 glc
	global_load_dwordx2 v[0:1], v8, s[36:37] offset:40
	v_mov_b32_e32 v12, s6
	v_mov_b32_e32 v13, s7
	s_waitcnt vmcnt(0)
	v_readfirstlane_b32 s16, v0
	v_readfirstlane_b32 s17, v1
	s_and_b64 s[16:17], s[16:17], s[6:7]
	s_mul_i32 s15, s17, 24
	s_mul_hi_u32 s17, s16, 24
	s_mul_i32 s16, s16, 24
	s_add_i32 s15, s17, s15
	v_mov_b32_e32 v0, s15
	v_add_co_u32_e32 v4, vcc, s16, v6
	v_addc_co_u32_e32 v5, vcc, v7, v0, vcc
	global_store_dwordx2 v[4:5], v[14:15], off
	s_waitcnt vmcnt(0)
	global_atomic_cmpswap_x2 v[2:3], v8, v[12:15], s[36:37] offset:32 glc
	s_waitcnt vmcnt(0)
	v_cmp_ne_u64_e32 vcc, v[2:3], v[14:15]
	s_and_saveexec_b64 s[16:17], vcc
	s_cbranch_execz .LBB3_1717
; %bb.1715:
	s_mov_b64 s[18:19], 0
.LBB3_1716:                             ; =>This Inner Loop Header: Depth=1
	s_sleep 1
	global_store_dwordx2 v[4:5], v[2:3], off
	v_mov_b32_e32 v0, s6
	v_mov_b32_e32 v1, s7
	s_waitcnt vmcnt(0)
	global_atomic_cmpswap_x2 v[0:1], v8, v[0:3], s[36:37] offset:32 glc
	s_waitcnt vmcnt(0)
	v_cmp_eq_u64_e32 vcc, v[0:1], v[2:3]
	v_mov_b32_e32 v3, v1
	s_or_b64 s[18:19], vcc, s[18:19]
	v_mov_b32_e32 v2, v0
	s_andn2_b64 exec, exec, s[18:19]
	s_cbranch_execnz .LBB3_1716
.LBB3_1717:
	s_or_b64 exec, exec, s[16:17]
	v_mov_b32_e32 v3, 0
	global_load_dwordx2 v[0:1], v3, s[36:37] offset:16
	s_mov_b64 s[16:17], exec
	v_mbcnt_lo_u32_b32 v2, s16, 0
	v_mbcnt_hi_u32_b32 v2, s17, v2
	v_cmp_eq_u32_e32 vcc, 0, v2
	s_and_saveexec_b64 s[18:19], vcc
	s_cbranch_execz .LBB3_1719
; %bb.1718:
	s_bcnt1_i32_b64 s15, s[16:17]
	v_mov_b32_e32 v2, s15
	s_waitcnt vmcnt(0)
	global_atomic_add_x2 v[0:1], v[2:3], off offset:8
.LBB3_1719:
	s_or_b64 exec, exec, s[18:19]
	s_waitcnt vmcnt(0)
	global_load_dwordx2 v[2:3], v[0:1], off offset:16
	s_waitcnt vmcnt(0)
	v_cmp_eq_u64_e32 vcc, 0, v[2:3]
	s_cbranch_vccnz .LBB3_1721
; %bb.1720:
	global_load_dword v0, v[0:1], off offset:24
	v_mov_b32_e32 v1, 0
	s_waitcnt vmcnt(0)
	global_store_dwordx2 v[2:3], v[0:1], off
	v_and_b32_e32 v0, 0xffffff, v0
	v_readfirstlane_b32 m0, v0
	s_sendmsg sendmsg(MSG_INTERRUPT)
.LBB3_1721:
	s_or_b64 exec, exec, s[10:11]
	s_branch .LBB3_1725
.LBB3_1722:                             ;   in Loop: Header=BB3_1725 Depth=1
	s_or_b64 exec, exec, s[10:11]
	v_readfirstlane_b32 s10, v0
	s_cmp_eq_u32 s10, 0
	s_cbranch_scc1 .LBB3_1724
; %bb.1723:                             ;   in Loop: Header=BB3_1725 Depth=1
	s_sleep 1
	s_cbranch_execnz .LBB3_1725
	s_branch .LBB3_1727
.LBB3_1724:
	s_branch .LBB3_1727
.LBB3_1725:                             ; =>This Inner Loop Header: Depth=1
	v_mov_b32_e32 v0, 1
	s_and_saveexec_b64 s[10:11], s[4:5]
	s_cbranch_execz .LBB3_1722
; %bb.1726:                             ;   in Loop: Header=BB3_1725 Depth=1
	global_load_dword v0, v[10:11], off offset:20 glc
	s_waitcnt vmcnt(0)
	buffer_wbinvl1_vol
	v_and_b32_e32 v0, 1, v0
	s_branch .LBB3_1722
.LBB3_1727:
	s_and_saveexec_b64 s[10:11], s[4:5]
	s_cbranch_execz .LBB3_1730
; %bb.1728:
	v_mov_b32_e32 v6, 0
	global_load_dwordx2 v[2:3], v6, s[36:37] offset:40
	global_load_dwordx2 v[7:8], v6, s[36:37] offset:24 glc
	global_load_dwordx2 v[4:5], v6, s[36:37]
	v_mov_b32_e32 v1, s7
	s_mov_b64 s[4:5], 0
	s_waitcnt vmcnt(2)
	v_add_co_u32_e32 v9, vcc, 1, v2
	v_addc_co_u32_e32 v10, vcc, 0, v3, vcc
	v_add_co_u32_e32 v0, vcc, s6, v9
	v_addc_co_u32_e32 v1, vcc, v10, v1, vcc
	v_cmp_eq_u64_e32 vcc, 0, v[0:1]
	v_cndmask_b32_e32 v1, v1, v10, vcc
	v_cndmask_b32_e32 v0, v0, v9, vcc
	v_and_b32_e32 v3, v1, v3
	v_and_b32_e32 v2, v0, v2
	v_mul_lo_u32 v3, v3, 24
	v_mul_hi_u32 v9, v2, 24
	v_mul_lo_u32 v10, v2, 24
	s_waitcnt vmcnt(1)
	v_mov_b32_e32 v2, v7
	v_add_u32_e32 v3, v9, v3
	s_waitcnt vmcnt(0)
	v_add_co_u32_e32 v4, vcc, v4, v10
	v_addc_co_u32_e32 v5, vcc, v5, v3, vcc
	global_store_dwordx2 v[4:5], v[7:8], off
	v_mov_b32_e32 v3, v8
	s_waitcnt vmcnt(0)
	global_atomic_cmpswap_x2 v[2:3], v6, v[0:3], s[36:37] offset:24 glc
	s_waitcnt vmcnt(0)
	v_cmp_ne_u64_e32 vcc, v[2:3], v[7:8]
	s_and_b64 exec, exec, vcc
	s_cbranch_execz .LBB3_1730
.LBB3_1729:                             ; =>This Inner Loop Header: Depth=1
	s_sleep 1
	global_store_dwordx2 v[4:5], v[2:3], off
	s_waitcnt vmcnt(0)
	global_atomic_cmpswap_x2 v[7:8], v6, v[0:3], s[36:37] offset:24 glc
	s_waitcnt vmcnt(0)
	v_cmp_eq_u64_e32 vcc, v[7:8], v[2:3]
	v_mov_b32_e32 v2, v7
	s_or_b64 s[4:5], vcc, s[4:5]
	v_mov_b32_e32 v3, v8
	s_andn2_b64 exec, exec, s[4:5]
	s_cbranch_execnz .LBB3_1729
.LBB3_1730:
	s_or_b64 exec, exec, s[10:11]
	flat_load_dwordx2 v[0:1], v[36:37]
	s_waitcnt vmcnt(0) lgkmcnt(0)
	flat_load_dword v2, v[0:1]
	s_waitcnt vmcnt(0) lgkmcnt(0)
	v_add_u32_e32 v2, 1, v2
	flat_store_dword v[0:1], v2
.LBB3_1731:
	s_or_b64 exec, exec, s[34:35]
	s_getpc_b64 s[4:5]
	s_add_u32 s4, s4, _ZN8migraphx4test4failEv@rel32@lo+4
	s_addc_u32 s5, s5, _ZN8migraphx4test4failEv@rel32@hi+12
	s_swappc_b64 s[30:31], s[4:5]
	; divergent unreachable
.LBB3_1732:
	s_andn2_saveexec_b64 s[4:5], s[28:29]
	s_or_b64 exec, exec, s[4:5]
	v_readlane_b32 s30, v40, 0
	v_readlane_b32 s31, v40, 1
	;; [unrolled: 1-line block ×3, first 2 shown]
	s_or_saveexec_b64 s[6:7], -1
	buffer_load_dword v40, off, s[0:3], s33 offset:36 ; 4-byte Folded Reload
	s_mov_b64 exec, s[6:7]
	s_addk_i32 s32, 0xf400
	s_mov_b32 s33, s4
	s_waitcnt vmcnt(0)
	s_setpc_b64 s[30:31]
.Lfunc_end3:
	.size	_ZL37search_pattern_appears_multiple_timesRN8migraphx4test12test_managerE, .Lfunc_end3-_ZL37search_pattern_appears_multiple_timesRN8migraphx4test12test_managerE
                                        ; -- End function
	.section	.AMDGPU.csdata,"",@progbits
; Function info:
; codeLenInByte = 59188
; NumSgprs: 52
; NumVgprs: 51
; ScratchSize: 48
; MemoryBound: 0
	.text
	.p2align	2                               ; -- Begin function _ZL26search_stress_long_patternRN8migraphx4test12test_managerE
	.type	_ZL26search_stress_long_patternRN8migraphx4test12test_managerE,@function
_ZL26search_stress_long_patternRN8migraphx4test12test_managerE: ; @_ZL26search_stress_long_patternRN8migraphx4test12test_managerE
; %bb.0:
	s_waitcnt vmcnt(0) expcnt(0) lgkmcnt(0)
	s_mov_b32 s4, s33
	s_mov_b32 s33, s32
	s_or_saveexec_b64 s[6:7], -1
	buffer_store_dword v40, off, s[0:3], s33 offset:60 ; 4-byte Folded Spill
	s_mov_b64 exec, s[6:7]
	v_writelane_b32 v40, s4, 2
	v_writelane_b32 v40, s30, 0
	s_addk_i32 s32, 0x1400
	v_writelane_b32 v40, s31, 1
	v_mov_b32_e32 v37, v1
	v_mov_b32_e32 v36, v0
	;; [unrolled: 1-line block ×4, first 2 shown]
	buffer_store_dword v0, off, s[0:3], s33
	buffer_store_dword v0, off, s[0:3], s33 offset:4
	buffer_store_dword v0, off, s[0:3], s33 offset:8
	;; [unrolled: 1-line block ×5, first 2 shown]
	v_mov_b32_e32 v1, 3
	buffer_store_dword v1, off, s[0:3], s33 offset:24
	v_mov_b32_e32 v1, 4
	buffer_store_dword v1, off, s[0:3], s33 offset:28
	v_mov_b32_e32 v1, 5
	buffer_store_dword v1, off, s[0:3], s33 offset:32
	v_mov_b32_e32 v1, 6
	buffer_store_dword v1, off, s[0:3], s33 offset:36
	v_mov_b32_e32 v1, 7
	v_lshrrev_b32_e64 v6, 6, s33
	buffer_store_dword v1, off, s[0:3], s33 offset:40
	v_mov_b32_e32 v1, 8
	s_mov_b64 s[4:5], src_private_base
	v_add_u32_e32 v38, 20, v6
	buffer_store_dword v1, off, s[0:3], s33 offset:44
	buffer_store_dword v0, off, s[0:3], s33 offset:48
	;; [unrolled: 1-line block ×4, first 2 shown]
	v_add_u32_e32 v0, 60, v6
	v_mov_b32_e32 v1, s5
	s_mov_b32 s4, 0
	s_mov_b64 s[6:7], 0
                                        ; implicit-def: $sgpr16_sgpr17
                                        ; implicit-def: $vgpr2_vgpr3
	s_branch .LBB4_12
.LBB4_1:                                ;   in Loop: Header=BB4_12 Depth=1
	v_mov_b32_e32 v2, v4
	s_orn2_b64 s[24:25], s[24:25], exec
	v_mov_b32_e32 v3, v5
.LBB4_2:                                ;   in Loop: Header=BB4_12 Depth=1
	s_or_b64 exec, exec, s[22:23]
	v_mov_b32_e32 v5, v3
	v_mov_b32_e32 v4, v2
.LBB4_3:                                ;   in Loop: Header=BB4_12 Depth=1
	v_mov_b32_e32 v2, v4
	s_orn2_b64 s[22:23], s[24:25], exec
	v_mov_b32_e32 v3, v5
.LBB4_4:                                ;   in Loop: Header=BB4_12 Depth=1
	s_or_b64 exec, exec, s[20:21]
	v_mov_b32_e32 v5, v3
	v_mov_b32_e32 v4, v2
.LBB4_5:                                ;   in Loop: Header=BB4_12 Depth=1
	v_mov_b32_e32 v2, v4
	s_orn2_b64 s[20:21], s[22:23], exec
	v_mov_b32_e32 v3, v5
.LBB4_6:                                ;   in Loop: Header=BB4_12 Depth=1
	s_or_b64 exec, exec, s[18:19]
	v_mov_b32_e32 v5, v3
	v_mov_b32_e32 v4, v2
.LBB4_7:                                ;   in Loop: Header=BB4_12 Depth=1
	v_mov_b32_e32 v2, v4
	s_orn2_b64 s[18:19], s[20:21], exec
	v_mov_b32_e32 v3, v5
.LBB4_8:                                ;   in Loop: Header=BB4_12 Depth=1
	s_or_b64 exec, exec, s[16:17]
	v_mov_b32_e32 v5, v3
	v_mov_b32_e32 v4, v2
.LBB4_9:                                ;   in Loop: Header=BB4_12 Depth=1
	v_mov_b32_e32 v2, v4
	s_orn2_b64 s[16:17], s[18:19], exec
	v_mov_b32_e32 v3, v5
.LBB4_10:                               ;   in Loop: Header=BB4_12 Depth=1
	s_or_b64 exec, exec, s[10:11]
	v_mov_b32_e32 v49, v3
	v_mov_b32_e32 v48, v2
.LBB4_11:                               ;   in Loop: Header=BB4_12 Depth=1
	s_xor_b64 s[10:11], s[16:17], -1
	s_add_i32 s4, s4, 4
	s_and_b64 s[10:11], exec, s[10:11]
	v_mov_b32_e32 v2, v48
	s_or_b64 s[6:7], s[10:11], s[6:7]
	v_mov_b32_e32 v3, v49
	s_andn2_b64 exec, exec, s[6:7]
	s_cbranch_execz .LBB4_24
.LBB4_12:                               ; =>This Inner Loop Header: Depth=1
	s_andn2_b64 s[16:17], s[16:17], exec
	v_mov_b32_e32 v49, v1
	s_cmp_eq_u32 s4, 60
	v_mov_b32_e32 v48, v0
	s_cbranch_scc1 .LBB4_11
; %bb.13:                               ;   in Loop: Header=BB4_12 Depth=1
	v_add_u32_e32 v7, s4, v6
	buffer_load_dword v4, v7, s[0:3], 0 offen
	s_mov_b64 s[16:17], -1
	s_waitcnt vmcnt(0)
	v_cmp_eq_u32_e32 vcc, 2, v4
	s_and_saveexec_b64 s[10:11], vcc
	s_cbranch_execz .LBB4_10
; %bb.14:                               ;   in Loop: Header=BB4_12 Depth=1
	v_mov_b32_e32 v5, v1
	s_mov_b64 s[18:19], 0
	s_cmp_eq_u32 s4, 56
	v_mov_b32_e32 v4, v0
	s_cbranch_scc1 .LBB4_9
; %bb.15:                               ;   in Loop: Header=BB4_12 Depth=1
	buffer_load_dword v4, v7, s[0:3], 0 offen offset:4
	s_mov_b64 s[18:19], -1
	s_waitcnt vmcnt(0)
	v_cmp_eq_u32_e32 vcc, 3, v4
	s_and_saveexec_b64 s[16:17], vcc
	s_cbranch_execz .LBB4_8
; %bb.16:                               ;   in Loop: Header=BB4_12 Depth=1
	v_mov_b32_e32 v5, v1
	s_mov_b64 s[20:21], 0
	s_cmp_eq_u32 s4, 52
	v_mov_b32_e32 v4, v0
	s_cbranch_scc1 .LBB4_7
; %bb.17:                               ;   in Loop: Header=BB4_12 Depth=1
	buffer_load_dword v4, v7, s[0:3], 0 offen offset:8
	;; [unrolled: 13-line block ×5, first 2 shown]
	v_mov_b32_e32 v5, s5
	s_waitcnt vmcnt(0)
	v_cmp_ne_u32_e32 vcc, 7, v4
	v_cndmask_b32_e32 v5, v5, v3, vcc
	v_cndmask_b32_e32 v4, v7, v2, vcc
	s_and_b64 s[24:25], vcc, exec
	s_branch .LBB4_1
.LBB4_24:
	s_or_b64 exec, exec, s[6:7]
	s_mov_b64 s[38:39], src_private_base
	v_mov_b32_e32 v39, s39
	v_cmp_ne_u64_e32 vcc, v[48:49], v[38:39]
	s_and_saveexec_b64 s[4:5], vcc
	s_xor_b64 s[28:29], exec, s[4:5]
	s_cbranch_execz .LBB4_1748
; %bb.25:
	v_and_b32_e32 v0, 0x3ff, v31
	v_cmp_eq_u32_e32 vcc, 0, v0
	s_and_saveexec_b64 s[34:35], vcc
	s_cbranch_execz .LBB4_1747
; %bb.26:
	s_load_dwordx2 s[36:37], s[8:9], 0x50
	v_mbcnt_lo_u32_b32 v0, -1, 0
	v_mbcnt_hi_u32_b32 v50, -1, v0
	v_readfirstlane_b32 s4, v50
	v_mov_b32_e32 v5, 0
	v_mov_b32_e32 v6, 0
	v_cmp_eq_u32_e64 s[4:5], s4, v50
	s_and_saveexec_b64 s[6:7], s[4:5]
	s_cbranch_execz .LBB4_32
; %bb.27:
	v_mov_b32_e32 v0, 0
	s_waitcnt lgkmcnt(0)
	global_load_dwordx2 v[3:4], v0, s[36:37] offset:24 glc
	s_waitcnt vmcnt(0)
	buffer_wbinvl1_vol
	global_load_dwordx2 v[1:2], v0, s[36:37] offset:40
	global_load_dwordx2 v[5:6], v0, s[36:37]
	s_waitcnt vmcnt(1)
	v_and_b32_e32 v1, v1, v3
	v_and_b32_e32 v2, v2, v4
	v_mul_lo_u32 v2, v2, 24
	v_mul_hi_u32 v7, v1, 24
	v_mul_lo_u32 v1, v1, 24
	v_add_u32_e32 v2, v7, v2
	s_waitcnt vmcnt(0)
	v_add_co_u32_e32 v1, vcc, v5, v1
	v_addc_co_u32_e32 v2, vcc, v6, v2, vcc
	global_load_dwordx2 v[1:2], v[1:2], off glc
	s_waitcnt vmcnt(0)
	global_atomic_cmpswap_x2 v[5:6], v0, v[1:4], s[36:37] offset:24 glc
	s_waitcnt vmcnt(0)
	buffer_wbinvl1_vol
	v_cmp_ne_u64_e32 vcc, v[5:6], v[3:4]
	s_and_saveexec_b64 s[10:11], vcc
	s_cbranch_execz .LBB4_31
; %bb.28:
	s_mov_b64 s[16:17], 0
.LBB4_29:                               ; =>This Inner Loop Header: Depth=1
	s_sleep 1
	global_load_dwordx2 v[1:2], v0, s[36:37] offset:40
	global_load_dwordx2 v[7:8], v0, s[36:37]
	v_mov_b32_e32 v3, v5
	v_mov_b32_e32 v4, v6
	s_waitcnt vmcnt(1)
	v_and_b32_e32 v1, v1, v3
	s_waitcnt vmcnt(0)
	v_mad_u64_u32 v[5:6], s[18:19], v1, 24, v[7:8]
	v_and_b32_e32 v2, v2, v4
	v_mov_b32_e32 v1, v6
	v_mad_u64_u32 v[1:2], s[18:19], v2, 24, v[1:2]
	v_mov_b32_e32 v6, v1
	global_load_dwordx2 v[1:2], v[5:6], off glc
	s_waitcnt vmcnt(0)
	global_atomic_cmpswap_x2 v[5:6], v0, v[1:4], s[36:37] offset:24 glc
	s_waitcnt vmcnt(0)
	buffer_wbinvl1_vol
	v_cmp_eq_u64_e32 vcc, v[5:6], v[3:4]
	s_or_b64 s[16:17], vcc, s[16:17]
	s_andn2_b64 exec, exec, s[16:17]
	s_cbranch_execnz .LBB4_29
; %bb.30:
	s_or_b64 exec, exec, s[16:17]
.LBB4_31:
	s_or_b64 exec, exec, s[10:11]
.LBB4_32:
	s_or_b64 exec, exec, s[6:7]
	v_mov_b32_e32 v4, 0
	s_waitcnt lgkmcnt(0)
	global_load_dwordx2 v[7:8], v4, s[36:37] offset:40
	global_load_dwordx4 v[0:3], v4, s[36:37]
	v_readfirstlane_b32 s6, v5
	v_readfirstlane_b32 s7, v6
	s_mov_b64 s[10:11], exec
	s_waitcnt vmcnt(1)
	v_readfirstlane_b32 s16, v7
	v_readfirstlane_b32 s17, v8
	s_and_b64 s[16:17], s[6:7], s[16:17]
	s_mul_i32 s15, s17, 24
	s_mul_hi_u32 s18, s16, 24
	s_mul_i32 s19, s16, 24
	s_add_i32 s15, s18, s15
	v_mov_b32_e32 v5, s15
	s_waitcnt vmcnt(0)
	v_add_co_u32_e32 v7, vcc, s19, v0
	v_addc_co_u32_e32 v8, vcc, v1, v5, vcc
	s_and_saveexec_b64 s[18:19], s[4:5]
	s_cbranch_execz .LBB4_34
; %bb.33:
	v_mov_b32_e32 v9, s10
	v_mov_b32_e32 v10, s11
	;; [unrolled: 1-line block ×4, first 2 shown]
	global_store_dwordx4 v[7:8], v[9:12], off offset:8
.LBB4_34:
	s_or_b64 exec, exec, s[18:19]
	s_lshl_b64 s[10:11], s[16:17], 12
	v_mov_b32_e32 v5, s11
	v_add_co_u32_e32 v2, vcc, s10, v2
	v_addc_co_u32_e32 v11, vcc, v3, v5, vcc
	s_mov_b32 s16, 0
	v_lshlrev_b32_e32 v39, 6, v50
	v_mov_b32_e32 v3, 33
	v_mov_b32_e32 v5, v4
	v_mov_b32_e32 v6, v4
	v_readfirstlane_b32 s10, v2
	v_readfirstlane_b32 s11, v11
	v_add_co_u32_e32 v9, vcc, v2, v39
	s_mov_b32 s17, s16
	s_mov_b32 s18, s16
	;; [unrolled: 1-line block ×3, first 2 shown]
	s_nop 0
	global_store_dwordx4 v39, v[3:6], s[10:11]
	v_mov_b32_e32 v2, s16
	v_addc_co_u32_e32 v10, vcc, 0, v11, vcc
	v_mov_b32_e32 v3, s17
	v_mov_b32_e32 v4, s18
	;; [unrolled: 1-line block ×3, first 2 shown]
	global_store_dwordx4 v39, v[2:5], s[10:11] offset:16
	global_store_dwordx4 v39, v[2:5], s[10:11] offset:32
	;; [unrolled: 1-line block ×3, first 2 shown]
	s_and_saveexec_b64 s[10:11], s[4:5]
	s_cbranch_execz .LBB4_42
; %bb.35:
	v_mov_b32_e32 v6, 0
	global_load_dwordx2 v[13:14], v6, s[36:37] offset:32 glc
	global_load_dwordx2 v[2:3], v6, s[36:37] offset:40
	v_mov_b32_e32 v11, s6
	v_mov_b32_e32 v12, s7
	s_waitcnt vmcnt(0)
	v_and_b32_e32 v2, s6, v2
	v_and_b32_e32 v3, s7, v3
	v_mul_lo_u32 v3, v3, 24
	v_mul_hi_u32 v4, v2, 24
	v_mul_lo_u32 v2, v2, 24
	v_add_u32_e32 v3, v4, v3
	v_add_co_u32_e32 v4, vcc, v0, v2
	v_addc_co_u32_e32 v5, vcc, v1, v3, vcc
	global_store_dwordx2 v[4:5], v[13:14], off
	s_waitcnt vmcnt(0)
	global_atomic_cmpswap_x2 v[2:3], v6, v[11:14], s[36:37] offset:32 glc
	s_waitcnt vmcnt(0)
	v_cmp_ne_u64_e32 vcc, v[2:3], v[13:14]
	s_and_saveexec_b64 s[16:17], vcc
	s_cbranch_execz .LBB4_38
; %bb.36:
	s_mov_b64 s[18:19], 0
.LBB4_37:                               ; =>This Inner Loop Header: Depth=1
	s_sleep 1
	global_store_dwordx2 v[4:5], v[2:3], off
	v_mov_b32_e32 v0, s6
	v_mov_b32_e32 v1, s7
	s_waitcnt vmcnt(0)
	global_atomic_cmpswap_x2 v[0:1], v6, v[0:3], s[36:37] offset:32 glc
	s_waitcnt vmcnt(0)
	v_cmp_eq_u64_e32 vcc, v[0:1], v[2:3]
	v_mov_b32_e32 v3, v1
	s_or_b64 s[18:19], vcc, s[18:19]
	v_mov_b32_e32 v2, v0
	s_andn2_b64 exec, exec, s[18:19]
	s_cbranch_execnz .LBB4_37
.LBB4_38:
	s_or_b64 exec, exec, s[16:17]
	v_mov_b32_e32 v3, 0
	global_load_dwordx2 v[0:1], v3, s[36:37] offset:16
	s_mov_b64 s[16:17], exec
	v_mbcnt_lo_u32_b32 v2, s16, 0
	v_mbcnt_hi_u32_b32 v2, s17, v2
	v_cmp_eq_u32_e32 vcc, 0, v2
	s_and_saveexec_b64 s[18:19], vcc
	s_cbranch_execz .LBB4_40
; %bb.39:
	s_bcnt1_i32_b64 s15, s[16:17]
	v_mov_b32_e32 v2, s15
	s_waitcnt vmcnt(0)
	global_atomic_add_x2 v[0:1], v[2:3], off offset:8
.LBB4_40:
	s_or_b64 exec, exec, s[18:19]
	s_waitcnt vmcnt(0)
	global_load_dwordx2 v[2:3], v[0:1], off offset:16
	s_waitcnt vmcnt(0)
	v_cmp_eq_u64_e32 vcc, 0, v[2:3]
	s_cbranch_vccnz .LBB4_42
; %bb.41:
	global_load_dword v0, v[0:1], off offset:24
	v_mov_b32_e32 v1, 0
	s_waitcnt vmcnt(0)
	global_store_dwordx2 v[2:3], v[0:1], off
	v_and_b32_e32 v0, 0xffffff, v0
	v_readfirstlane_b32 m0, v0
	s_sendmsg sendmsg(MSG_INTERRUPT)
.LBB4_42:
	s_or_b64 exec, exec, s[10:11]
	s_branch .LBB4_46
.LBB4_43:                               ;   in Loop: Header=BB4_46 Depth=1
	s_or_b64 exec, exec, s[10:11]
	v_readfirstlane_b32 s10, v0
	s_cmp_eq_u32 s10, 0
	s_cbranch_scc1 .LBB4_45
; %bb.44:                               ;   in Loop: Header=BB4_46 Depth=1
	s_sleep 1
	s_cbranch_execnz .LBB4_46
	s_branch .LBB4_48
.LBB4_45:
	s_branch .LBB4_48
.LBB4_46:                               ; =>This Inner Loop Header: Depth=1
	v_mov_b32_e32 v0, 1
	s_and_saveexec_b64 s[10:11], s[4:5]
	s_cbranch_execz .LBB4_43
; %bb.47:                               ;   in Loop: Header=BB4_46 Depth=1
	global_load_dword v0, v[7:8], off offset:20 glc
	s_waitcnt vmcnt(0)
	buffer_wbinvl1_vol
	v_and_b32_e32 v0, 1, v0
	s_branch .LBB4_43
.LBB4_48:
	global_load_dwordx2 v[4:5], v[9:10], off
	s_and_saveexec_b64 s[10:11], s[4:5]
	s_cbranch_execz .LBB4_51
; %bb.49:
	v_mov_b32_e32 v8, 0
	global_load_dwordx2 v[2:3], v8, s[36:37] offset:40
	global_load_dwordx2 v[9:10], v8, s[36:37] offset:24 glc
	global_load_dwordx2 v[6:7], v8, s[36:37]
	v_mov_b32_e32 v1, s7
	s_mov_b64 s[4:5], 0
	s_waitcnt vmcnt(2)
	v_add_co_u32_e32 v11, vcc, 1, v2
	v_addc_co_u32_e32 v12, vcc, 0, v3, vcc
	v_add_co_u32_e32 v0, vcc, s6, v11
	v_addc_co_u32_e32 v1, vcc, v12, v1, vcc
	v_cmp_eq_u64_e32 vcc, 0, v[0:1]
	v_cndmask_b32_e32 v1, v1, v12, vcc
	v_cndmask_b32_e32 v0, v0, v11, vcc
	v_and_b32_e32 v3, v1, v3
	v_and_b32_e32 v2, v0, v2
	v_mul_lo_u32 v3, v3, 24
	v_mul_hi_u32 v11, v2, 24
	v_mul_lo_u32 v12, v2, 24
	s_waitcnt vmcnt(1)
	v_mov_b32_e32 v2, v9
	v_add_u32_e32 v3, v11, v3
	s_waitcnt vmcnt(0)
	v_add_co_u32_e32 v6, vcc, v6, v12
	v_addc_co_u32_e32 v7, vcc, v7, v3, vcc
	global_store_dwordx2 v[6:7], v[9:10], off
	v_mov_b32_e32 v3, v10
	s_waitcnt vmcnt(0)
	global_atomic_cmpswap_x2 v[2:3], v8, v[0:3], s[36:37] offset:24 glc
	s_waitcnt vmcnt(0)
	v_cmp_ne_u64_e32 vcc, v[2:3], v[9:10]
	s_and_b64 exec, exec, vcc
	s_cbranch_execz .LBB4_51
.LBB4_50:                               ; =>This Inner Loop Header: Depth=1
	s_sleep 1
	global_store_dwordx2 v[6:7], v[2:3], off
	s_waitcnt vmcnt(0)
	global_atomic_cmpswap_x2 v[9:10], v8, v[0:3], s[36:37] offset:24 glc
	s_waitcnt vmcnt(0)
	v_cmp_eq_u64_e32 vcc, v[9:10], v[2:3]
	v_mov_b32_e32 v2, v9
	s_or_b64 s[4:5], vcc, s[4:5]
	v_mov_b32_e32 v3, v10
	s_andn2_b64 exec, exec, s[4:5]
	s_cbranch_execnz .LBB4_50
.LBB4_51:
	s_or_b64 exec, exec, s[10:11]
	s_getpc_b64 s[10:11]
	s_add_u32 s10, s10, .str.5@rel32@lo+4
	s_addc_u32 s11, s11, .str.5@rel32@hi+12
	s_cmp_lg_u64 s[10:11], 0
	s_cselect_b64 s[6:7], -1, 0
	s_and_b64 vcc, exec, s[6:7]
	s_cbranch_vccz .LBB4_136
; %bb.52:
	s_waitcnt vmcnt(0)
	v_and_b32_e32 v29, 2, v4
	v_mov_b32_e32 v26, 0
	v_and_b32_e32 v0, -3, v4
	v_mov_b32_e32 v1, v5
	s_mov_b64 s[16:17], 3
	v_mov_b32_e32 v8, 2
	v_mov_b32_e32 v9, 1
	s_branch .LBB4_54
.LBB4_53:                               ;   in Loop: Header=BB4_54 Depth=1
	s_or_b64 exec, exec, s[22:23]
	s_sub_u32 s16, s16, s18
	s_subb_u32 s17, s17, s19
	s_add_u32 s10, s10, s18
	s_addc_u32 s11, s11, s19
	s_cmp_lg_u64 s[16:17], 0
	s_cbranch_scc0 .LBB4_135
.LBB4_54:                               ; =>This Loop Header: Depth=1
                                        ;     Child Loop BB4_57 Depth 2
                                        ;     Child Loop BB4_64 Depth 2
	;; [unrolled: 1-line block ×11, first 2 shown]
	v_cmp_lt_u64_e64 s[4:5], s[16:17], 56
	v_cmp_gt_u64_e64 s[20:21], s[16:17], 7
	s_and_b64 s[4:5], s[4:5], exec
	s_cselect_b32 s19, s17, 0
	s_cselect_b32 s18, s16, 56
	s_and_b64 vcc, exec, s[20:21]
	s_cbranch_vccnz .LBB4_59
; %bb.55:                               ;   in Loop: Header=BB4_54 Depth=1
	s_waitcnt vmcnt(0)
	v_mov_b32_e32 v2, 0
	s_cmp_eq_u64 s[16:17], 0
	v_mov_b32_e32 v3, 0
	s_mov_b64 s[4:5], 0
	s_cbranch_scc1 .LBB4_58
; %bb.56:                               ;   in Loop: Header=BB4_54 Depth=1
	v_mov_b32_e32 v2, 0
	s_lshl_b64 s[20:21], s[18:19], 3
	s_mov_b64 s[22:23], 0
	v_mov_b32_e32 v3, 0
	s_mov_b64 s[24:25], s[10:11]
.LBB4_57:                               ;   Parent Loop BB4_54 Depth=1
                                        ; =>  This Inner Loop Header: Depth=2
	global_load_ubyte v6, v26, s[24:25]
	s_waitcnt vmcnt(0)
	v_and_b32_e32 v25, 0xffff, v6
	v_lshlrev_b64 v[6:7], s22, v[25:26]
	s_add_u32 s22, s22, 8
	s_addc_u32 s23, s23, 0
	s_add_u32 s24, s24, 1
	s_addc_u32 s25, s25, 0
	v_or_b32_e32 v2, v6, v2
	s_cmp_lg_u32 s20, s22
	v_or_b32_e32 v3, v7, v3
	s_cbranch_scc1 .LBB4_57
.LBB4_58:                               ;   in Loop: Header=BB4_54 Depth=1
	s_mov_b32 s15, 0
	s_andn2_b64 vcc, exec, s[4:5]
	s_mov_b64 s[4:5], s[10:11]
	s_cbranch_vccz .LBB4_60
	s_branch .LBB4_61
.LBB4_59:                               ;   in Loop: Header=BB4_54 Depth=1
                                        ; implicit-def: $vgpr2_vgpr3
                                        ; implicit-def: $sgpr15
	s_mov_b64 s[4:5], s[10:11]
.LBB4_60:                               ;   in Loop: Header=BB4_54 Depth=1
	global_load_dwordx2 v[2:3], v26, s[10:11]
	s_add_i32 s15, s18, -8
	s_add_u32 s4, s10, 8
	s_addc_u32 s5, s11, 0
.LBB4_61:                               ;   in Loop: Header=BB4_54 Depth=1
	s_cmp_gt_u32 s15, 7
	s_cbranch_scc1 .LBB4_65
; %bb.62:                               ;   in Loop: Header=BB4_54 Depth=1
	s_cmp_eq_u32 s15, 0
	s_cbranch_scc1 .LBB4_66
; %bb.63:                               ;   in Loop: Header=BB4_54 Depth=1
	v_mov_b32_e32 v10, 0
	s_mov_b64 s[20:21], 0
	v_mov_b32_e32 v11, 0
	s_mov_b64 s[22:23], 0
.LBB4_64:                               ;   Parent Loop BB4_54 Depth=1
                                        ; =>  This Inner Loop Header: Depth=2
	s_add_u32 s24, s4, s22
	s_addc_u32 s25, s5, s23
	global_load_ubyte v6, v26, s[24:25]
	s_add_u32 s22, s22, 1
	s_addc_u32 s23, s23, 0
	s_waitcnt vmcnt(0)
	v_and_b32_e32 v25, 0xffff, v6
	v_lshlrev_b64 v[6:7], s20, v[25:26]
	s_add_u32 s20, s20, 8
	s_addc_u32 s21, s21, 0
	v_or_b32_e32 v10, v6, v10
	s_cmp_lg_u32 s15, s22
	v_or_b32_e32 v11, v7, v11
	s_cbranch_scc1 .LBB4_64
	s_branch .LBB4_67
.LBB4_65:                               ;   in Loop: Header=BB4_54 Depth=1
                                        ; implicit-def: $vgpr10_vgpr11
                                        ; implicit-def: $sgpr24
	s_branch .LBB4_68
.LBB4_66:                               ;   in Loop: Header=BB4_54 Depth=1
	v_mov_b32_e32 v10, 0
	v_mov_b32_e32 v11, 0
.LBB4_67:                               ;   in Loop: Header=BB4_54 Depth=1
	s_mov_b32 s24, 0
	s_cbranch_execnz .LBB4_69
.LBB4_68:                               ;   in Loop: Header=BB4_54 Depth=1
	global_load_dwordx2 v[10:11], v26, s[4:5]
	s_add_i32 s24, s15, -8
	s_add_u32 s4, s4, 8
	s_addc_u32 s5, s5, 0
.LBB4_69:                               ;   in Loop: Header=BB4_54 Depth=1
	s_cmp_gt_u32 s24, 7
	s_cbranch_scc1 .LBB4_73
; %bb.70:                               ;   in Loop: Header=BB4_54 Depth=1
	s_cmp_eq_u32 s24, 0
	s_cbranch_scc1 .LBB4_74
; %bb.71:                               ;   in Loop: Header=BB4_54 Depth=1
	v_mov_b32_e32 v12, 0
	s_mov_b64 s[20:21], 0
	v_mov_b32_e32 v13, 0
	s_mov_b64 s[22:23], 0
.LBB4_72:                               ;   Parent Loop BB4_54 Depth=1
                                        ; =>  This Inner Loop Header: Depth=2
	s_add_u32 s26, s4, s22
	s_addc_u32 s27, s5, s23
	global_load_ubyte v6, v26, s[26:27]
	s_add_u32 s22, s22, 1
	s_addc_u32 s23, s23, 0
	s_waitcnt vmcnt(0)
	v_and_b32_e32 v25, 0xffff, v6
	v_lshlrev_b64 v[6:7], s20, v[25:26]
	s_add_u32 s20, s20, 8
	s_addc_u32 s21, s21, 0
	v_or_b32_e32 v12, v6, v12
	s_cmp_lg_u32 s24, s22
	v_or_b32_e32 v13, v7, v13
	s_cbranch_scc1 .LBB4_72
	s_branch .LBB4_75
.LBB4_73:                               ;   in Loop: Header=BB4_54 Depth=1
                                        ; implicit-def: $sgpr15
	s_branch .LBB4_76
.LBB4_74:                               ;   in Loop: Header=BB4_54 Depth=1
	v_mov_b32_e32 v12, 0
	v_mov_b32_e32 v13, 0
.LBB4_75:                               ;   in Loop: Header=BB4_54 Depth=1
	s_mov_b32 s15, 0
	s_cbranch_execnz .LBB4_77
.LBB4_76:                               ;   in Loop: Header=BB4_54 Depth=1
	global_load_dwordx2 v[12:13], v26, s[4:5]
	s_add_i32 s15, s24, -8
	s_add_u32 s4, s4, 8
	s_addc_u32 s5, s5, 0
.LBB4_77:                               ;   in Loop: Header=BB4_54 Depth=1
	s_cmp_gt_u32 s15, 7
	s_cbranch_scc1 .LBB4_81
; %bb.78:                               ;   in Loop: Header=BB4_54 Depth=1
	s_cmp_eq_u32 s15, 0
	s_cbranch_scc1 .LBB4_82
; %bb.79:                               ;   in Loop: Header=BB4_54 Depth=1
	v_mov_b32_e32 v14, 0
	s_mov_b64 s[20:21], 0
	v_mov_b32_e32 v15, 0
	s_mov_b64 s[22:23], 0
.LBB4_80:                               ;   Parent Loop BB4_54 Depth=1
                                        ; =>  This Inner Loop Header: Depth=2
	s_add_u32 s24, s4, s22
	s_addc_u32 s25, s5, s23
	global_load_ubyte v6, v26, s[24:25]
	s_add_u32 s22, s22, 1
	s_addc_u32 s23, s23, 0
	s_waitcnt vmcnt(0)
	v_and_b32_e32 v25, 0xffff, v6
	v_lshlrev_b64 v[6:7], s20, v[25:26]
	s_add_u32 s20, s20, 8
	s_addc_u32 s21, s21, 0
	v_or_b32_e32 v14, v6, v14
	s_cmp_lg_u32 s15, s22
	v_or_b32_e32 v15, v7, v15
	s_cbranch_scc1 .LBB4_80
	s_branch .LBB4_83
.LBB4_81:                               ;   in Loop: Header=BB4_54 Depth=1
                                        ; implicit-def: $vgpr14_vgpr15
                                        ; implicit-def: $sgpr24
	s_branch .LBB4_84
.LBB4_82:                               ;   in Loop: Header=BB4_54 Depth=1
	v_mov_b32_e32 v14, 0
	v_mov_b32_e32 v15, 0
.LBB4_83:                               ;   in Loop: Header=BB4_54 Depth=1
	s_mov_b32 s24, 0
	s_cbranch_execnz .LBB4_85
.LBB4_84:                               ;   in Loop: Header=BB4_54 Depth=1
	global_load_dwordx2 v[14:15], v26, s[4:5]
	s_add_i32 s24, s15, -8
	s_add_u32 s4, s4, 8
	s_addc_u32 s5, s5, 0
.LBB4_85:                               ;   in Loop: Header=BB4_54 Depth=1
	s_cmp_gt_u32 s24, 7
	s_cbranch_scc1 .LBB4_89
; %bb.86:                               ;   in Loop: Header=BB4_54 Depth=1
	s_cmp_eq_u32 s24, 0
	s_cbranch_scc1 .LBB4_90
; %bb.87:                               ;   in Loop: Header=BB4_54 Depth=1
	v_mov_b32_e32 v16, 0
	s_mov_b64 s[20:21], 0
	v_mov_b32_e32 v17, 0
	s_mov_b64 s[22:23], 0
.LBB4_88:                               ;   Parent Loop BB4_54 Depth=1
                                        ; =>  This Inner Loop Header: Depth=2
	s_add_u32 s26, s4, s22
	s_addc_u32 s27, s5, s23
	global_load_ubyte v6, v26, s[26:27]
	s_add_u32 s22, s22, 1
	s_addc_u32 s23, s23, 0
	s_waitcnt vmcnt(0)
	v_and_b32_e32 v25, 0xffff, v6
	v_lshlrev_b64 v[6:7], s20, v[25:26]
	s_add_u32 s20, s20, 8
	s_addc_u32 s21, s21, 0
	v_or_b32_e32 v16, v6, v16
	s_cmp_lg_u32 s24, s22
	v_or_b32_e32 v17, v7, v17
	s_cbranch_scc1 .LBB4_88
	s_branch .LBB4_91
.LBB4_89:                               ;   in Loop: Header=BB4_54 Depth=1
                                        ; implicit-def: $sgpr15
	s_branch .LBB4_92
.LBB4_90:                               ;   in Loop: Header=BB4_54 Depth=1
	v_mov_b32_e32 v16, 0
	v_mov_b32_e32 v17, 0
.LBB4_91:                               ;   in Loop: Header=BB4_54 Depth=1
	s_mov_b32 s15, 0
	s_cbranch_execnz .LBB4_93
.LBB4_92:                               ;   in Loop: Header=BB4_54 Depth=1
	global_load_dwordx2 v[16:17], v26, s[4:5]
	s_add_i32 s15, s24, -8
	s_add_u32 s4, s4, 8
	s_addc_u32 s5, s5, 0
.LBB4_93:                               ;   in Loop: Header=BB4_54 Depth=1
	s_cmp_gt_u32 s15, 7
	s_cbranch_scc1 .LBB4_97
; %bb.94:                               ;   in Loop: Header=BB4_54 Depth=1
	s_cmp_eq_u32 s15, 0
	s_cbranch_scc1 .LBB4_98
; %bb.95:                               ;   in Loop: Header=BB4_54 Depth=1
	v_mov_b32_e32 v18, 0
	s_mov_b64 s[20:21], 0
	v_mov_b32_e32 v19, 0
	s_mov_b64 s[22:23], 0
.LBB4_96:                               ;   Parent Loop BB4_54 Depth=1
                                        ; =>  This Inner Loop Header: Depth=2
	s_add_u32 s24, s4, s22
	s_addc_u32 s25, s5, s23
	global_load_ubyte v6, v26, s[24:25]
	s_add_u32 s22, s22, 1
	s_addc_u32 s23, s23, 0
	s_waitcnt vmcnt(0)
	v_and_b32_e32 v25, 0xffff, v6
	v_lshlrev_b64 v[6:7], s20, v[25:26]
	s_add_u32 s20, s20, 8
	s_addc_u32 s21, s21, 0
	v_or_b32_e32 v18, v6, v18
	s_cmp_lg_u32 s15, s22
	v_or_b32_e32 v19, v7, v19
	s_cbranch_scc1 .LBB4_96
	s_branch .LBB4_99
.LBB4_97:                               ;   in Loop: Header=BB4_54 Depth=1
                                        ; implicit-def: $vgpr18_vgpr19
                                        ; implicit-def: $sgpr24
	s_branch .LBB4_100
.LBB4_98:                               ;   in Loop: Header=BB4_54 Depth=1
	v_mov_b32_e32 v18, 0
	v_mov_b32_e32 v19, 0
.LBB4_99:                               ;   in Loop: Header=BB4_54 Depth=1
	s_mov_b32 s24, 0
	s_cbranch_execnz .LBB4_101
.LBB4_100:                              ;   in Loop: Header=BB4_54 Depth=1
	global_load_dwordx2 v[18:19], v26, s[4:5]
	s_add_i32 s24, s15, -8
	s_add_u32 s4, s4, 8
	s_addc_u32 s5, s5, 0
.LBB4_101:                              ;   in Loop: Header=BB4_54 Depth=1
	s_cmp_gt_u32 s24, 7
	s_cbranch_scc1 .LBB4_105
; %bb.102:                              ;   in Loop: Header=BB4_54 Depth=1
	s_cmp_eq_u32 s24, 0
	s_cbranch_scc1 .LBB4_106
; %bb.103:                              ;   in Loop: Header=BB4_54 Depth=1
	v_mov_b32_e32 v20, 0
	s_mov_b64 s[20:21], 0
	v_mov_b32_e32 v21, 0
	s_mov_b64 s[22:23], s[4:5]
.LBB4_104:                              ;   Parent Loop BB4_54 Depth=1
                                        ; =>  This Inner Loop Header: Depth=2
	global_load_ubyte v6, v26, s[22:23]
	s_add_i32 s24, s24, -1
	s_waitcnt vmcnt(0)
	v_and_b32_e32 v25, 0xffff, v6
	v_lshlrev_b64 v[6:7], s20, v[25:26]
	s_add_u32 s20, s20, 8
	s_addc_u32 s21, s21, 0
	s_add_u32 s22, s22, 1
	s_addc_u32 s23, s23, 0
	v_or_b32_e32 v20, v6, v20
	s_cmp_lg_u32 s24, 0
	v_or_b32_e32 v21, v7, v21
	s_cbranch_scc1 .LBB4_104
	s_branch .LBB4_107
.LBB4_105:                              ;   in Loop: Header=BB4_54 Depth=1
	s_branch .LBB4_108
.LBB4_106:                              ;   in Loop: Header=BB4_54 Depth=1
	v_mov_b32_e32 v20, 0
	v_mov_b32_e32 v21, 0
.LBB4_107:                              ;   in Loop: Header=BB4_54 Depth=1
	s_cbranch_execnz .LBB4_109
.LBB4_108:                              ;   in Loop: Header=BB4_54 Depth=1
	global_load_dwordx2 v[20:21], v26, s[4:5]
.LBB4_109:                              ;   in Loop: Header=BB4_54 Depth=1
	v_readfirstlane_b32 s4, v50
	v_mov_b32_e32 v6, 0
	v_mov_b32_e32 v7, 0
	v_cmp_eq_u32_e64 s[4:5], s4, v50
	s_and_saveexec_b64 s[20:21], s[4:5]
	s_cbranch_execz .LBB4_115
; %bb.110:                              ;   in Loop: Header=BB4_54 Depth=1
	global_load_dwordx2 v[24:25], v26, s[36:37] offset:24 glc
	s_waitcnt vmcnt(0)
	buffer_wbinvl1_vol
	global_load_dwordx2 v[6:7], v26, s[36:37] offset:40
	global_load_dwordx2 v[22:23], v26, s[36:37]
	s_waitcnt vmcnt(1)
	v_and_b32_e32 v6, v6, v24
	v_and_b32_e32 v7, v7, v25
	v_mul_lo_u32 v7, v7, 24
	v_mul_hi_u32 v27, v6, 24
	v_mul_lo_u32 v6, v6, 24
	v_add_u32_e32 v7, v27, v7
	s_waitcnt vmcnt(0)
	v_add_co_u32_e32 v6, vcc, v22, v6
	v_addc_co_u32_e32 v7, vcc, v23, v7, vcc
	global_load_dwordx2 v[22:23], v[6:7], off glc
	s_waitcnt vmcnt(0)
	global_atomic_cmpswap_x2 v[6:7], v26, v[22:25], s[36:37] offset:24 glc
	s_waitcnt vmcnt(0)
	buffer_wbinvl1_vol
	v_cmp_ne_u64_e32 vcc, v[6:7], v[24:25]
	s_and_saveexec_b64 s[22:23], vcc
	s_cbranch_execz .LBB4_114
; %bb.111:                              ;   in Loop: Header=BB4_54 Depth=1
	s_mov_b64 s[24:25], 0
.LBB4_112:                              ;   Parent Loop BB4_54 Depth=1
                                        ; =>  This Inner Loop Header: Depth=2
	s_sleep 1
	global_load_dwordx2 v[22:23], v26, s[36:37] offset:40
	global_load_dwordx2 v[27:28], v26, s[36:37]
	v_mov_b32_e32 v25, v7
	v_mov_b32_e32 v24, v6
	s_waitcnt vmcnt(1)
	v_and_b32_e32 v6, v22, v24
	s_waitcnt vmcnt(0)
	v_mad_u64_u32 v[6:7], s[26:27], v6, 24, v[27:28]
	v_and_b32_e32 v22, v23, v25
	v_mad_u64_u32 v[22:23], s[26:27], v22, 24, v[7:8]
	v_mov_b32_e32 v7, v22
	global_load_dwordx2 v[22:23], v[6:7], off glc
	s_waitcnt vmcnt(0)
	global_atomic_cmpswap_x2 v[6:7], v26, v[22:25], s[36:37] offset:24 glc
	s_waitcnt vmcnt(0)
	buffer_wbinvl1_vol
	v_cmp_eq_u64_e32 vcc, v[6:7], v[24:25]
	s_or_b64 s[24:25], vcc, s[24:25]
	s_andn2_b64 exec, exec, s[24:25]
	s_cbranch_execnz .LBB4_112
; %bb.113:                              ;   in Loop: Header=BB4_54 Depth=1
	s_or_b64 exec, exec, s[24:25]
.LBB4_114:                              ;   in Loop: Header=BB4_54 Depth=1
	s_or_b64 exec, exec, s[22:23]
.LBB4_115:                              ;   in Loop: Header=BB4_54 Depth=1
	s_or_b64 exec, exec, s[20:21]
	global_load_dwordx2 v[27:28], v26, s[36:37] offset:40
	global_load_dwordx4 v[22:25], v26, s[36:37]
	v_readfirstlane_b32 s20, v6
	v_readfirstlane_b32 s21, v7
	s_mov_b64 s[22:23], exec
	s_waitcnt vmcnt(1)
	v_readfirstlane_b32 s24, v27
	v_readfirstlane_b32 s25, v28
	s_and_b64 s[24:25], s[20:21], s[24:25]
	s_mul_i32 s15, s25, 24
	s_mul_hi_u32 s26, s24, 24
	s_mul_i32 s27, s24, 24
	s_add_i32 s15, s26, s15
	v_mov_b32_e32 v6, s15
	s_waitcnt vmcnt(0)
	v_add_co_u32_e32 v27, vcc, s27, v22
	v_addc_co_u32_e32 v28, vcc, v23, v6, vcc
	s_and_saveexec_b64 s[26:27], s[4:5]
	s_cbranch_execz .LBB4_117
; %bb.116:                              ;   in Loop: Header=BB4_54 Depth=1
	v_mov_b32_e32 v6, s22
	v_mov_b32_e32 v7, s23
	global_store_dwordx4 v[27:28], v[6:9], off offset:8
.LBB4_117:                              ;   in Loop: Header=BB4_54 Depth=1
	s_or_b64 exec, exec, s[26:27]
	s_lshl_b64 s[22:23], s[24:25], 12
	v_mov_b32_e32 v6, s23
	v_add_co_u32_e32 v24, vcc, s22, v24
	v_addc_co_u32_e32 v30, vcc, v25, v6, vcc
	v_cmp_gt_u64_e64 vcc, s[16:17], 56
	v_or_b32_e32 v7, v0, v29
	s_lshl_b32 s15, s18, 2
	v_cndmask_b32_e32 v0, v7, v0, vcc
	s_add_i32 s15, s15, 28
	v_or_b32_e32 v6, 0, v1
	s_and_b32 s15, s15, 0x1e0
	v_and_b32_e32 v0, 0xffffff1f, v0
	v_cndmask_b32_e32 v1, v6, v1, vcc
	v_or_b32_e32 v0, s15, v0
	v_readfirstlane_b32 s22, v24
	v_readfirstlane_b32 s23, v30
	s_nop 4
	global_store_dwordx4 v39, v[0:3], s[22:23]
	global_store_dwordx4 v39, v[10:13], s[22:23] offset:16
	global_store_dwordx4 v39, v[14:17], s[22:23] offset:32
	;; [unrolled: 1-line block ×3, first 2 shown]
	s_and_saveexec_b64 s[22:23], s[4:5]
	s_cbranch_execz .LBB4_125
; %bb.118:                              ;   in Loop: Header=BB4_54 Depth=1
	global_load_dwordx2 v[12:13], v26, s[36:37] offset:32 glc
	global_load_dwordx2 v[0:1], v26, s[36:37] offset:40
	v_mov_b32_e32 v10, s20
	v_mov_b32_e32 v11, s21
	s_waitcnt vmcnt(0)
	v_readfirstlane_b32 s24, v0
	v_readfirstlane_b32 s25, v1
	s_and_b64 s[24:25], s[24:25], s[20:21]
	s_mul_i32 s15, s25, 24
	s_mul_hi_u32 s25, s24, 24
	s_mul_i32 s24, s24, 24
	s_add_i32 s15, s25, s15
	v_mov_b32_e32 v0, s15
	v_add_co_u32_e32 v6, vcc, s24, v22
	v_addc_co_u32_e32 v7, vcc, v23, v0, vcc
	global_store_dwordx2 v[6:7], v[12:13], off
	s_waitcnt vmcnt(0)
	global_atomic_cmpswap_x2 v[2:3], v26, v[10:13], s[36:37] offset:32 glc
	s_waitcnt vmcnt(0)
	v_cmp_ne_u64_e32 vcc, v[2:3], v[12:13]
	s_and_saveexec_b64 s[24:25], vcc
	s_cbranch_execz .LBB4_121
; %bb.119:                              ;   in Loop: Header=BB4_54 Depth=1
	s_mov_b64 s[26:27], 0
.LBB4_120:                              ;   Parent Loop BB4_54 Depth=1
                                        ; =>  This Inner Loop Header: Depth=2
	s_sleep 1
	global_store_dwordx2 v[6:7], v[2:3], off
	v_mov_b32_e32 v0, s20
	v_mov_b32_e32 v1, s21
	s_waitcnt vmcnt(0)
	global_atomic_cmpswap_x2 v[0:1], v26, v[0:3], s[36:37] offset:32 glc
	s_waitcnt vmcnt(0)
	v_cmp_eq_u64_e32 vcc, v[0:1], v[2:3]
	v_mov_b32_e32 v3, v1
	s_or_b64 s[26:27], vcc, s[26:27]
	v_mov_b32_e32 v2, v0
	s_andn2_b64 exec, exec, s[26:27]
	s_cbranch_execnz .LBB4_120
.LBB4_121:                              ;   in Loop: Header=BB4_54 Depth=1
	s_or_b64 exec, exec, s[24:25]
	global_load_dwordx2 v[0:1], v26, s[36:37] offset:16
	s_mov_b64 s[26:27], exec
	v_mbcnt_lo_u32_b32 v2, s26, 0
	v_mbcnt_hi_u32_b32 v2, s27, v2
	v_cmp_eq_u32_e32 vcc, 0, v2
	s_and_saveexec_b64 s[24:25], vcc
	s_cbranch_execz .LBB4_123
; %bb.122:                              ;   in Loop: Header=BB4_54 Depth=1
	s_bcnt1_i32_b64 s15, s[26:27]
	v_mov_b32_e32 v25, s15
	s_waitcnt vmcnt(0)
	global_atomic_add_x2 v[0:1], v[25:26], off offset:8
.LBB4_123:                              ;   in Loop: Header=BB4_54 Depth=1
	s_or_b64 exec, exec, s[24:25]
	s_waitcnt vmcnt(0)
	global_load_dwordx2 v[2:3], v[0:1], off offset:16
	s_waitcnt vmcnt(0)
	v_cmp_eq_u64_e32 vcc, 0, v[2:3]
	s_cbranch_vccnz .LBB4_125
; %bb.124:                              ;   in Loop: Header=BB4_54 Depth=1
	global_load_dword v25, v[0:1], off offset:24
	s_waitcnt vmcnt(0)
	v_and_b32_e32 v0, 0xffffff, v25
	v_readfirstlane_b32 m0, v0
	global_store_dwordx2 v[2:3], v[25:26], off
	s_sendmsg sendmsg(MSG_INTERRUPT)
.LBB4_125:                              ;   in Loop: Header=BB4_54 Depth=1
	s_or_b64 exec, exec, s[22:23]
	v_add_co_u32_e32 v0, vcc, v24, v39
	v_addc_co_u32_e32 v1, vcc, 0, v30, vcc
	s_branch .LBB4_129
.LBB4_126:                              ;   in Loop: Header=BB4_129 Depth=2
	s_or_b64 exec, exec, s[22:23]
	v_readfirstlane_b32 s15, v2
	s_cmp_eq_u32 s15, 0
	s_cbranch_scc1 .LBB4_128
; %bb.127:                              ;   in Loop: Header=BB4_129 Depth=2
	s_sleep 1
	s_cbranch_execnz .LBB4_129
	s_branch .LBB4_131
.LBB4_128:                              ;   in Loop: Header=BB4_54 Depth=1
	s_branch .LBB4_131
.LBB4_129:                              ;   Parent Loop BB4_54 Depth=1
                                        ; =>  This Inner Loop Header: Depth=2
	v_mov_b32_e32 v2, 1
	s_and_saveexec_b64 s[22:23], s[4:5]
	s_cbranch_execz .LBB4_126
; %bb.130:                              ;   in Loop: Header=BB4_129 Depth=2
	global_load_dword v2, v[27:28], off offset:20 glc
	s_waitcnt vmcnt(0)
	buffer_wbinvl1_vol
	v_and_b32_e32 v2, 1, v2
	s_branch .LBB4_126
.LBB4_131:                              ;   in Loop: Header=BB4_54 Depth=1
	global_load_dwordx4 v[0:3], v[0:1], off
	s_and_saveexec_b64 s[22:23], s[4:5]
	s_cbranch_execz .LBB4_53
; %bb.132:                              ;   in Loop: Header=BB4_54 Depth=1
	global_load_dwordx2 v[2:3], v26, s[36:37] offset:40
	global_load_dwordx2 v[6:7], v26, s[36:37] offset:24 glc
	global_load_dwordx2 v[13:14], v26, s[36:37]
	v_mov_b32_e32 v11, s21
	s_waitcnt vmcnt(2)
	v_add_co_u32_e32 v12, vcc, 1, v2
	v_addc_co_u32_e32 v15, vcc, 0, v3, vcc
	v_add_co_u32_e32 v10, vcc, s20, v12
	v_addc_co_u32_e32 v11, vcc, v15, v11, vcc
	v_cmp_eq_u64_e32 vcc, 0, v[10:11]
	v_cndmask_b32_e32 v11, v11, v15, vcc
	v_cndmask_b32_e32 v10, v10, v12, vcc
	v_and_b32_e32 v3, v11, v3
	v_and_b32_e32 v2, v10, v2
	v_mul_lo_u32 v3, v3, 24
	v_mul_hi_u32 v15, v2, 24
	v_mul_lo_u32 v2, v2, 24
	s_waitcnt vmcnt(1)
	v_mov_b32_e32 v12, v6
	v_add_u32_e32 v3, v15, v3
	s_waitcnt vmcnt(0)
	v_add_co_u32_e32 v2, vcc, v13, v2
	v_addc_co_u32_e32 v3, vcc, v14, v3, vcc
	global_store_dwordx2 v[2:3], v[6:7], off
	v_mov_b32_e32 v13, v7
	s_waitcnt vmcnt(0)
	global_atomic_cmpswap_x2 v[12:13], v26, v[10:13], s[36:37] offset:24 glc
	s_waitcnt vmcnt(0)
	v_cmp_ne_u64_e32 vcc, v[12:13], v[6:7]
	s_and_b64 exec, exec, vcc
	s_cbranch_execz .LBB4_53
; %bb.133:                              ;   in Loop: Header=BB4_54 Depth=1
	s_mov_b64 s[4:5], 0
.LBB4_134:                              ;   Parent Loop BB4_54 Depth=1
                                        ; =>  This Inner Loop Header: Depth=2
	s_sleep 1
	global_store_dwordx2 v[2:3], v[12:13], off
	s_waitcnt vmcnt(0)
	global_atomic_cmpswap_x2 v[6:7], v26, v[10:13], s[36:37] offset:24 glc
	s_waitcnt vmcnt(0)
	v_cmp_eq_u64_e32 vcc, v[6:7], v[12:13]
	v_mov_b32_e32 v13, v7
	s_or_b64 s[4:5], vcc, s[4:5]
	v_mov_b32_e32 v12, v6
	s_andn2_b64 exec, exec, s[4:5]
	s_cbranch_execnz .LBB4_134
	s_branch .LBB4_53
.LBB4_135:
	s_branch .LBB4_163
.LBB4_136:
                                        ; implicit-def: $vgpr0_vgpr1
	s_cbranch_execz .LBB4_163
; %bb.137:
	v_readfirstlane_b32 s4, v50
	v_mov_b32_e32 v7, 0
	v_mov_b32_e32 v8, 0
	v_cmp_eq_u32_e64 s[4:5], s4, v50
	s_and_saveexec_b64 s[10:11], s[4:5]
	s_cbranch_execz .LBB4_143
; %bb.138:
	s_waitcnt vmcnt(0)
	v_mov_b32_e32 v0, 0
	global_load_dwordx2 v[9:10], v0, s[36:37] offset:24 glc
	s_waitcnt vmcnt(0)
	buffer_wbinvl1_vol
	global_load_dwordx2 v[1:2], v0, s[36:37] offset:40
	global_load_dwordx2 v[6:7], v0, s[36:37]
	s_waitcnt vmcnt(1)
	v_and_b32_e32 v1, v1, v9
	v_and_b32_e32 v2, v2, v10
	v_mul_lo_u32 v2, v2, 24
	v_mul_hi_u32 v3, v1, 24
	v_mul_lo_u32 v1, v1, 24
	v_add_u32_e32 v2, v3, v2
	s_waitcnt vmcnt(0)
	v_add_co_u32_e32 v1, vcc, v6, v1
	v_addc_co_u32_e32 v2, vcc, v7, v2, vcc
	global_load_dwordx2 v[7:8], v[1:2], off glc
	s_waitcnt vmcnt(0)
	global_atomic_cmpswap_x2 v[7:8], v0, v[7:10], s[36:37] offset:24 glc
	s_waitcnt vmcnt(0)
	buffer_wbinvl1_vol
	v_cmp_ne_u64_e32 vcc, v[7:8], v[9:10]
	s_and_saveexec_b64 s[16:17], vcc
	s_cbranch_execz .LBB4_142
; %bb.139:
	s_mov_b64 s[18:19], 0
.LBB4_140:                              ; =>This Inner Loop Header: Depth=1
	s_sleep 1
	global_load_dwordx2 v[1:2], v0, s[36:37] offset:40
	global_load_dwordx2 v[11:12], v0, s[36:37]
	v_mov_b32_e32 v10, v8
	v_mov_b32_e32 v9, v7
	s_waitcnt vmcnt(1)
	v_and_b32_e32 v1, v1, v9
	s_waitcnt vmcnt(0)
	v_mad_u64_u32 v[6:7], s[20:21], v1, 24, v[11:12]
	v_and_b32_e32 v2, v2, v10
	v_mov_b32_e32 v1, v7
	v_mad_u64_u32 v[1:2], s[20:21], v2, 24, v[1:2]
	v_mov_b32_e32 v7, v1
	global_load_dwordx2 v[7:8], v[6:7], off glc
	s_waitcnt vmcnt(0)
	global_atomic_cmpswap_x2 v[7:8], v0, v[7:10], s[36:37] offset:24 glc
	s_waitcnt vmcnt(0)
	buffer_wbinvl1_vol
	v_cmp_eq_u64_e32 vcc, v[7:8], v[9:10]
	s_or_b64 s[18:19], vcc, s[18:19]
	s_andn2_b64 exec, exec, s[18:19]
	s_cbranch_execnz .LBB4_140
; %bb.141:
	s_or_b64 exec, exec, s[18:19]
.LBB4_142:
	s_or_b64 exec, exec, s[16:17]
.LBB4_143:
	s_or_b64 exec, exec, s[10:11]
	v_mov_b32_e32 v6, 0
	global_load_dwordx2 v[9:10], v6, s[36:37] offset:40
	global_load_dwordx4 v[0:3], v6, s[36:37]
	v_readfirstlane_b32 s10, v7
	v_readfirstlane_b32 s11, v8
	s_mov_b64 s[16:17], exec
	s_waitcnt vmcnt(1)
	v_readfirstlane_b32 s18, v9
	v_readfirstlane_b32 s19, v10
	s_and_b64 s[18:19], s[10:11], s[18:19]
	s_mul_i32 s15, s19, 24
	s_mul_hi_u32 s20, s18, 24
	s_mul_i32 s21, s18, 24
	s_add_i32 s15, s20, s15
	v_mov_b32_e32 v7, s15
	s_waitcnt vmcnt(0)
	v_add_co_u32_e32 v8, vcc, s21, v0
	v_addc_co_u32_e32 v9, vcc, v1, v7, vcc
	s_and_saveexec_b64 s[20:21], s[4:5]
	s_cbranch_execz .LBB4_145
; %bb.144:
	v_mov_b32_e32 v10, s16
	v_mov_b32_e32 v11, s17
	;; [unrolled: 1-line block ×4, first 2 shown]
	global_store_dwordx4 v[8:9], v[10:13], off offset:8
.LBB4_145:
	s_or_b64 exec, exec, s[20:21]
	s_lshl_b64 s[16:17], s[18:19], 12
	v_mov_b32_e32 v7, s17
	v_add_co_u32_e32 v2, vcc, s16, v2
	v_addc_co_u32_e32 v3, vcc, v3, v7, vcc
	s_movk_i32 s15, 0xff1f
	v_and_or_b32 v4, v4, s15, 32
	v_add_co_u32_e32 v10, vcc, v2, v39
	s_mov_b32 s16, 0
	v_mov_b32_e32 v7, v6
	v_readfirstlane_b32 s20, v2
	v_readfirstlane_b32 s21, v3
	v_addc_co_u32_e32 v11, vcc, 0, v3, vcc
	s_mov_b32 s17, s16
	s_mov_b32 s18, s16
	;; [unrolled: 1-line block ×3, first 2 shown]
	s_nop 0
	global_store_dwordx4 v39, v[4:7], s[20:21]
	v_mov_b32_e32 v2, s16
	v_mov_b32_e32 v3, s17
	;; [unrolled: 1-line block ×4, first 2 shown]
	global_store_dwordx4 v39, v[2:5], s[20:21] offset:16
	global_store_dwordx4 v39, v[2:5], s[20:21] offset:32
	;; [unrolled: 1-line block ×3, first 2 shown]
	s_and_saveexec_b64 s[16:17], s[4:5]
	s_cbranch_execz .LBB4_153
; %bb.146:
	v_mov_b32_e32 v6, 0
	global_load_dwordx2 v[14:15], v6, s[36:37] offset:32 glc
	global_load_dwordx2 v[2:3], v6, s[36:37] offset:40
	v_mov_b32_e32 v12, s10
	v_mov_b32_e32 v13, s11
	s_waitcnt vmcnt(0)
	v_readfirstlane_b32 s18, v2
	v_readfirstlane_b32 s19, v3
	s_and_b64 s[18:19], s[18:19], s[10:11]
	s_mul_i32 s15, s19, 24
	s_mul_hi_u32 s19, s18, 24
	s_mul_i32 s18, s18, 24
	s_add_i32 s15, s19, s15
	v_mov_b32_e32 v2, s15
	v_add_co_u32_e32 v4, vcc, s18, v0
	v_addc_co_u32_e32 v5, vcc, v1, v2, vcc
	global_store_dwordx2 v[4:5], v[14:15], off
	s_waitcnt vmcnt(0)
	global_atomic_cmpswap_x2 v[2:3], v6, v[12:15], s[36:37] offset:32 glc
	s_waitcnt vmcnt(0)
	v_cmp_ne_u64_e32 vcc, v[2:3], v[14:15]
	s_and_saveexec_b64 s[18:19], vcc
	s_cbranch_execz .LBB4_149
; %bb.147:
	s_mov_b64 s[20:21], 0
.LBB4_148:                              ; =>This Inner Loop Header: Depth=1
	s_sleep 1
	global_store_dwordx2 v[4:5], v[2:3], off
	v_mov_b32_e32 v0, s10
	v_mov_b32_e32 v1, s11
	s_waitcnt vmcnt(0)
	global_atomic_cmpswap_x2 v[0:1], v6, v[0:3], s[36:37] offset:32 glc
	s_waitcnt vmcnt(0)
	v_cmp_eq_u64_e32 vcc, v[0:1], v[2:3]
	v_mov_b32_e32 v3, v1
	s_or_b64 s[20:21], vcc, s[20:21]
	v_mov_b32_e32 v2, v0
	s_andn2_b64 exec, exec, s[20:21]
	s_cbranch_execnz .LBB4_148
.LBB4_149:
	s_or_b64 exec, exec, s[18:19]
	v_mov_b32_e32 v3, 0
	global_load_dwordx2 v[0:1], v3, s[36:37] offset:16
	s_mov_b64 s[18:19], exec
	v_mbcnt_lo_u32_b32 v2, s18, 0
	v_mbcnt_hi_u32_b32 v2, s19, v2
	v_cmp_eq_u32_e32 vcc, 0, v2
	s_and_saveexec_b64 s[20:21], vcc
	s_cbranch_execz .LBB4_151
; %bb.150:
	s_bcnt1_i32_b64 s15, s[18:19]
	v_mov_b32_e32 v2, s15
	s_waitcnt vmcnt(0)
	global_atomic_add_x2 v[0:1], v[2:3], off offset:8
.LBB4_151:
	s_or_b64 exec, exec, s[20:21]
	s_waitcnt vmcnt(0)
	global_load_dwordx2 v[2:3], v[0:1], off offset:16
	s_waitcnt vmcnt(0)
	v_cmp_eq_u64_e32 vcc, 0, v[2:3]
	s_cbranch_vccnz .LBB4_153
; %bb.152:
	global_load_dword v0, v[0:1], off offset:24
	v_mov_b32_e32 v1, 0
	s_waitcnt vmcnt(0)
	global_store_dwordx2 v[2:3], v[0:1], off
	v_and_b32_e32 v0, 0xffffff, v0
	v_readfirstlane_b32 m0, v0
	s_sendmsg sendmsg(MSG_INTERRUPT)
.LBB4_153:
	s_or_b64 exec, exec, s[16:17]
	s_branch .LBB4_157
.LBB4_154:                              ;   in Loop: Header=BB4_157 Depth=1
	s_or_b64 exec, exec, s[16:17]
	v_readfirstlane_b32 s15, v0
	s_cmp_eq_u32 s15, 0
	s_cbranch_scc1 .LBB4_156
; %bb.155:                              ;   in Loop: Header=BB4_157 Depth=1
	s_sleep 1
	s_cbranch_execnz .LBB4_157
	s_branch .LBB4_159
.LBB4_156:
	s_branch .LBB4_159
.LBB4_157:                              ; =>This Inner Loop Header: Depth=1
	v_mov_b32_e32 v0, 1
	s_and_saveexec_b64 s[16:17], s[4:5]
	s_cbranch_execz .LBB4_154
; %bb.158:                              ;   in Loop: Header=BB4_157 Depth=1
	global_load_dword v0, v[8:9], off offset:20 glc
	s_waitcnt vmcnt(0)
	buffer_wbinvl1_vol
	v_and_b32_e32 v0, 1, v0
	s_branch .LBB4_154
.LBB4_159:
	global_load_dwordx2 v[0:1], v[10:11], off
	s_and_saveexec_b64 s[16:17], s[4:5]
	s_cbranch_execz .LBB4_162
; %bb.160:
	v_mov_b32_e32 v8, 0
	global_load_dwordx2 v[4:5], v8, s[36:37] offset:40
	global_load_dwordx2 v[9:10], v8, s[36:37] offset:24 glc
	global_load_dwordx2 v[6:7], v8, s[36:37]
	v_mov_b32_e32 v3, s11
	s_mov_b64 s[4:5], 0
	s_waitcnt vmcnt(2)
	v_add_co_u32_e32 v11, vcc, 1, v4
	v_addc_co_u32_e32 v12, vcc, 0, v5, vcc
	v_add_co_u32_e32 v2, vcc, s10, v11
	v_addc_co_u32_e32 v3, vcc, v12, v3, vcc
	v_cmp_eq_u64_e32 vcc, 0, v[2:3]
	v_cndmask_b32_e32 v3, v3, v12, vcc
	v_cndmask_b32_e32 v2, v2, v11, vcc
	v_and_b32_e32 v5, v3, v5
	v_and_b32_e32 v4, v2, v4
	v_mul_lo_u32 v5, v5, 24
	v_mul_hi_u32 v11, v4, 24
	v_mul_lo_u32 v12, v4, 24
	s_waitcnt vmcnt(1)
	v_mov_b32_e32 v4, v9
	v_add_u32_e32 v5, v11, v5
	s_waitcnt vmcnt(0)
	v_add_co_u32_e32 v6, vcc, v6, v12
	v_addc_co_u32_e32 v7, vcc, v7, v5, vcc
	global_store_dwordx2 v[6:7], v[9:10], off
	v_mov_b32_e32 v5, v10
	s_waitcnt vmcnt(0)
	global_atomic_cmpswap_x2 v[4:5], v8, v[2:5], s[36:37] offset:24 glc
	s_waitcnt vmcnt(0)
	v_cmp_ne_u64_e32 vcc, v[4:5], v[9:10]
	s_and_b64 exec, exec, vcc
	s_cbranch_execz .LBB4_162
.LBB4_161:                              ; =>This Inner Loop Header: Depth=1
	s_sleep 1
	global_store_dwordx2 v[6:7], v[4:5], off
	s_waitcnt vmcnt(0)
	global_atomic_cmpswap_x2 v[9:10], v8, v[2:5], s[36:37] offset:24 glc
	s_waitcnt vmcnt(0)
	v_cmp_eq_u64_e32 vcc, v[9:10], v[4:5]
	v_mov_b32_e32 v4, v9
	s_or_b64 s[4:5], vcc, s[4:5]
	v_mov_b32_e32 v5, v10
	s_andn2_b64 exec, exec, s[4:5]
	s_cbranch_execnz .LBB4_161
.LBB4_162:
	s_or_b64 exec, exec, s[16:17]
.LBB4_163:
	s_getpc_b64 s[10:11]
	s_add_u32 s10, s10, __PRETTY_FUNCTION__._ZL26search_stress_long_patternRN8migraphx4test12test_managerE@rel32@lo+4
	s_addc_u32 s11, s11, __PRETTY_FUNCTION__._ZL26search_stress_long_patternRN8migraphx4test12test_managerE@rel32@hi+12
	s_cmp_lg_u64 s[10:11], 0
	s_cbranch_scc0 .LBB4_248
; %bb.164:
	s_waitcnt vmcnt(0)
	v_and_b32_e32 v6, -3, v0
	v_mov_b32_e32 v7, v1
	s_mov_b64 s[16:17], 64
	v_mov_b32_e32 v26, 0
	v_mov_b32_e32 v4, 2
	;; [unrolled: 1-line block ×3, first 2 shown]
	s_branch .LBB4_166
.LBB4_165:                              ;   in Loop: Header=BB4_166 Depth=1
	s_or_b64 exec, exec, s[22:23]
	s_sub_u32 s16, s16, s18
	s_subb_u32 s17, s17, s19
	s_add_u32 s10, s10, s18
	s_addc_u32 s11, s11, s19
	s_cmp_lg_u64 s[16:17], 0
	s_cbranch_scc0 .LBB4_247
.LBB4_166:                              ; =>This Loop Header: Depth=1
                                        ;     Child Loop BB4_169 Depth 2
                                        ;     Child Loop BB4_176 Depth 2
	;; [unrolled: 1-line block ×11, first 2 shown]
	v_cmp_lt_u64_e64 s[4:5], s[16:17], 56
	v_cmp_gt_u64_e64 s[20:21], s[16:17], 7
	s_and_b64 s[4:5], s[4:5], exec
	s_cselect_b32 s19, s17, 0
	s_cselect_b32 s18, s16, 56
	s_and_b64 vcc, exec, s[20:21]
	s_cbranch_vccnz .LBB4_171
; %bb.167:                              ;   in Loop: Header=BB4_166 Depth=1
	s_waitcnt vmcnt(0)
	v_mov_b32_e32 v8, 0
	s_cmp_eq_u64 s[16:17], 0
	v_mov_b32_e32 v9, 0
	s_mov_b64 s[4:5], 0
	s_cbranch_scc1 .LBB4_170
; %bb.168:                              ;   in Loop: Header=BB4_166 Depth=1
	v_mov_b32_e32 v8, 0
	s_lshl_b64 s[20:21], s[18:19], 3
	s_mov_b64 s[22:23], 0
	v_mov_b32_e32 v9, 0
	s_mov_b64 s[24:25], s[10:11]
.LBB4_169:                              ;   Parent Loop BB4_166 Depth=1
                                        ; =>  This Inner Loop Header: Depth=2
	global_load_ubyte v2, v26, s[24:25]
	s_waitcnt vmcnt(0)
	v_and_b32_e32 v25, 0xffff, v2
	v_lshlrev_b64 v[2:3], s22, v[25:26]
	s_add_u32 s22, s22, 8
	s_addc_u32 s23, s23, 0
	s_add_u32 s24, s24, 1
	s_addc_u32 s25, s25, 0
	v_or_b32_e32 v8, v2, v8
	s_cmp_lg_u32 s20, s22
	v_or_b32_e32 v9, v3, v9
	s_cbranch_scc1 .LBB4_169
.LBB4_170:                              ;   in Loop: Header=BB4_166 Depth=1
	s_mov_b32 s15, 0
	s_andn2_b64 vcc, exec, s[4:5]
	s_mov_b64 s[4:5], s[10:11]
	s_cbranch_vccz .LBB4_172
	s_branch .LBB4_173
.LBB4_171:                              ;   in Loop: Header=BB4_166 Depth=1
                                        ; implicit-def: $sgpr15
	s_mov_b64 s[4:5], s[10:11]
.LBB4_172:                              ;   in Loop: Header=BB4_166 Depth=1
	global_load_dwordx2 v[8:9], v26, s[10:11]
	s_add_i32 s15, s18, -8
	s_add_u32 s4, s10, 8
	s_addc_u32 s5, s11, 0
.LBB4_173:                              ;   in Loop: Header=BB4_166 Depth=1
	s_cmp_gt_u32 s15, 7
	s_cbranch_scc1 .LBB4_177
; %bb.174:                              ;   in Loop: Header=BB4_166 Depth=1
	s_cmp_eq_u32 s15, 0
	s_cbranch_scc1 .LBB4_178
; %bb.175:                              ;   in Loop: Header=BB4_166 Depth=1
	v_mov_b32_e32 v10, 0
	s_mov_b64 s[20:21], 0
	v_mov_b32_e32 v11, 0
	s_mov_b64 s[22:23], 0
.LBB4_176:                              ;   Parent Loop BB4_166 Depth=1
                                        ; =>  This Inner Loop Header: Depth=2
	s_add_u32 s24, s4, s22
	s_addc_u32 s25, s5, s23
	global_load_ubyte v2, v26, s[24:25]
	s_add_u32 s22, s22, 1
	s_addc_u32 s23, s23, 0
	s_waitcnt vmcnt(0)
	v_and_b32_e32 v25, 0xffff, v2
	v_lshlrev_b64 v[2:3], s20, v[25:26]
	s_add_u32 s20, s20, 8
	s_addc_u32 s21, s21, 0
	v_or_b32_e32 v10, v2, v10
	s_cmp_lg_u32 s15, s22
	v_or_b32_e32 v11, v3, v11
	s_cbranch_scc1 .LBB4_176
	s_branch .LBB4_179
.LBB4_177:                              ;   in Loop: Header=BB4_166 Depth=1
                                        ; implicit-def: $vgpr10_vgpr11
                                        ; implicit-def: $sgpr24
	s_branch .LBB4_180
.LBB4_178:                              ;   in Loop: Header=BB4_166 Depth=1
	v_mov_b32_e32 v10, 0
	v_mov_b32_e32 v11, 0
.LBB4_179:                              ;   in Loop: Header=BB4_166 Depth=1
	s_mov_b32 s24, 0
	s_cbranch_execnz .LBB4_181
.LBB4_180:                              ;   in Loop: Header=BB4_166 Depth=1
	global_load_dwordx2 v[10:11], v26, s[4:5]
	s_add_i32 s24, s15, -8
	s_add_u32 s4, s4, 8
	s_addc_u32 s5, s5, 0
.LBB4_181:                              ;   in Loop: Header=BB4_166 Depth=1
	s_cmp_gt_u32 s24, 7
	s_cbranch_scc1 .LBB4_185
; %bb.182:                              ;   in Loop: Header=BB4_166 Depth=1
	s_cmp_eq_u32 s24, 0
	s_cbranch_scc1 .LBB4_186
; %bb.183:                              ;   in Loop: Header=BB4_166 Depth=1
	v_mov_b32_e32 v12, 0
	s_mov_b64 s[20:21], 0
	v_mov_b32_e32 v13, 0
	s_mov_b64 s[22:23], 0
.LBB4_184:                              ;   Parent Loop BB4_166 Depth=1
                                        ; =>  This Inner Loop Header: Depth=2
	s_add_u32 s26, s4, s22
	s_addc_u32 s27, s5, s23
	global_load_ubyte v2, v26, s[26:27]
	s_add_u32 s22, s22, 1
	s_addc_u32 s23, s23, 0
	s_waitcnt vmcnt(0)
	v_and_b32_e32 v25, 0xffff, v2
	v_lshlrev_b64 v[2:3], s20, v[25:26]
	s_add_u32 s20, s20, 8
	s_addc_u32 s21, s21, 0
	v_or_b32_e32 v12, v2, v12
	s_cmp_lg_u32 s24, s22
	v_or_b32_e32 v13, v3, v13
	s_cbranch_scc1 .LBB4_184
	s_branch .LBB4_187
.LBB4_185:                              ;   in Loop: Header=BB4_166 Depth=1
                                        ; implicit-def: $sgpr15
	s_branch .LBB4_188
.LBB4_186:                              ;   in Loop: Header=BB4_166 Depth=1
	v_mov_b32_e32 v12, 0
	v_mov_b32_e32 v13, 0
.LBB4_187:                              ;   in Loop: Header=BB4_166 Depth=1
	s_mov_b32 s15, 0
	s_cbranch_execnz .LBB4_189
.LBB4_188:                              ;   in Loop: Header=BB4_166 Depth=1
	global_load_dwordx2 v[12:13], v26, s[4:5]
	s_add_i32 s15, s24, -8
	s_add_u32 s4, s4, 8
	s_addc_u32 s5, s5, 0
.LBB4_189:                              ;   in Loop: Header=BB4_166 Depth=1
	s_cmp_gt_u32 s15, 7
	s_cbranch_scc1 .LBB4_193
; %bb.190:                              ;   in Loop: Header=BB4_166 Depth=1
	s_cmp_eq_u32 s15, 0
	s_cbranch_scc1 .LBB4_194
; %bb.191:                              ;   in Loop: Header=BB4_166 Depth=1
	v_mov_b32_e32 v14, 0
	s_mov_b64 s[20:21], 0
	v_mov_b32_e32 v15, 0
	s_mov_b64 s[22:23], 0
.LBB4_192:                              ;   Parent Loop BB4_166 Depth=1
                                        ; =>  This Inner Loop Header: Depth=2
	s_add_u32 s24, s4, s22
	s_addc_u32 s25, s5, s23
	global_load_ubyte v2, v26, s[24:25]
	s_add_u32 s22, s22, 1
	s_addc_u32 s23, s23, 0
	s_waitcnt vmcnt(0)
	v_and_b32_e32 v25, 0xffff, v2
	v_lshlrev_b64 v[2:3], s20, v[25:26]
	s_add_u32 s20, s20, 8
	s_addc_u32 s21, s21, 0
	v_or_b32_e32 v14, v2, v14
	s_cmp_lg_u32 s15, s22
	v_or_b32_e32 v15, v3, v15
	s_cbranch_scc1 .LBB4_192
	s_branch .LBB4_195
.LBB4_193:                              ;   in Loop: Header=BB4_166 Depth=1
                                        ; implicit-def: $vgpr14_vgpr15
                                        ; implicit-def: $sgpr24
	s_branch .LBB4_196
.LBB4_194:                              ;   in Loop: Header=BB4_166 Depth=1
	v_mov_b32_e32 v14, 0
	v_mov_b32_e32 v15, 0
.LBB4_195:                              ;   in Loop: Header=BB4_166 Depth=1
	s_mov_b32 s24, 0
	s_cbranch_execnz .LBB4_197
.LBB4_196:                              ;   in Loop: Header=BB4_166 Depth=1
	global_load_dwordx2 v[14:15], v26, s[4:5]
	s_add_i32 s24, s15, -8
	s_add_u32 s4, s4, 8
	s_addc_u32 s5, s5, 0
.LBB4_197:                              ;   in Loop: Header=BB4_166 Depth=1
	s_cmp_gt_u32 s24, 7
	s_cbranch_scc1 .LBB4_201
; %bb.198:                              ;   in Loop: Header=BB4_166 Depth=1
	s_cmp_eq_u32 s24, 0
	s_cbranch_scc1 .LBB4_202
; %bb.199:                              ;   in Loop: Header=BB4_166 Depth=1
	v_mov_b32_e32 v16, 0
	s_mov_b64 s[20:21], 0
	v_mov_b32_e32 v17, 0
	s_mov_b64 s[22:23], 0
.LBB4_200:                              ;   Parent Loop BB4_166 Depth=1
                                        ; =>  This Inner Loop Header: Depth=2
	s_add_u32 s26, s4, s22
	s_addc_u32 s27, s5, s23
	global_load_ubyte v2, v26, s[26:27]
	s_add_u32 s22, s22, 1
	s_addc_u32 s23, s23, 0
	s_waitcnt vmcnt(0)
	v_and_b32_e32 v25, 0xffff, v2
	v_lshlrev_b64 v[2:3], s20, v[25:26]
	s_add_u32 s20, s20, 8
	s_addc_u32 s21, s21, 0
	v_or_b32_e32 v16, v2, v16
	s_cmp_lg_u32 s24, s22
	v_or_b32_e32 v17, v3, v17
	s_cbranch_scc1 .LBB4_200
	s_branch .LBB4_203
.LBB4_201:                              ;   in Loop: Header=BB4_166 Depth=1
                                        ; implicit-def: $sgpr15
	s_branch .LBB4_204
.LBB4_202:                              ;   in Loop: Header=BB4_166 Depth=1
	v_mov_b32_e32 v16, 0
	v_mov_b32_e32 v17, 0
.LBB4_203:                              ;   in Loop: Header=BB4_166 Depth=1
	s_mov_b32 s15, 0
	s_cbranch_execnz .LBB4_205
.LBB4_204:                              ;   in Loop: Header=BB4_166 Depth=1
	global_load_dwordx2 v[16:17], v26, s[4:5]
	s_add_i32 s15, s24, -8
	s_add_u32 s4, s4, 8
	s_addc_u32 s5, s5, 0
.LBB4_205:                              ;   in Loop: Header=BB4_166 Depth=1
	s_cmp_gt_u32 s15, 7
	s_cbranch_scc1 .LBB4_209
; %bb.206:                              ;   in Loop: Header=BB4_166 Depth=1
	s_cmp_eq_u32 s15, 0
	s_cbranch_scc1 .LBB4_210
; %bb.207:                              ;   in Loop: Header=BB4_166 Depth=1
	v_mov_b32_e32 v18, 0
	s_mov_b64 s[20:21], 0
	v_mov_b32_e32 v19, 0
	s_mov_b64 s[22:23], 0
.LBB4_208:                              ;   Parent Loop BB4_166 Depth=1
                                        ; =>  This Inner Loop Header: Depth=2
	s_add_u32 s24, s4, s22
	s_addc_u32 s25, s5, s23
	global_load_ubyte v2, v26, s[24:25]
	s_add_u32 s22, s22, 1
	s_addc_u32 s23, s23, 0
	s_waitcnt vmcnt(0)
	v_and_b32_e32 v25, 0xffff, v2
	v_lshlrev_b64 v[2:3], s20, v[25:26]
	s_add_u32 s20, s20, 8
	s_addc_u32 s21, s21, 0
	v_or_b32_e32 v18, v2, v18
	s_cmp_lg_u32 s15, s22
	v_or_b32_e32 v19, v3, v19
	s_cbranch_scc1 .LBB4_208
	s_branch .LBB4_211
.LBB4_209:                              ;   in Loop: Header=BB4_166 Depth=1
                                        ; implicit-def: $vgpr18_vgpr19
                                        ; implicit-def: $sgpr24
	s_branch .LBB4_212
.LBB4_210:                              ;   in Loop: Header=BB4_166 Depth=1
	v_mov_b32_e32 v18, 0
	v_mov_b32_e32 v19, 0
.LBB4_211:                              ;   in Loop: Header=BB4_166 Depth=1
	s_mov_b32 s24, 0
	s_cbranch_execnz .LBB4_213
.LBB4_212:                              ;   in Loop: Header=BB4_166 Depth=1
	global_load_dwordx2 v[18:19], v26, s[4:5]
	s_add_i32 s24, s15, -8
	s_add_u32 s4, s4, 8
	s_addc_u32 s5, s5, 0
.LBB4_213:                              ;   in Loop: Header=BB4_166 Depth=1
	s_cmp_gt_u32 s24, 7
	s_cbranch_scc1 .LBB4_217
; %bb.214:                              ;   in Loop: Header=BB4_166 Depth=1
	s_cmp_eq_u32 s24, 0
	s_cbranch_scc1 .LBB4_218
; %bb.215:                              ;   in Loop: Header=BB4_166 Depth=1
	v_mov_b32_e32 v20, 0
	s_mov_b64 s[20:21], 0
	v_mov_b32_e32 v21, 0
	s_mov_b64 s[22:23], s[4:5]
.LBB4_216:                              ;   Parent Loop BB4_166 Depth=1
                                        ; =>  This Inner Loop Header: Depth=2
	global_load_ubyte v2, v26, s[22:23]
	s_add_i32 s24, s24, -1
	s_waitcnt vmcnt(0)
	v_and_b32_e32 v25, 0xffff, v2
	v_lshlrev_b64 v[2:3], s20, v[25:26]
	s_add_u32 s20, s20, 8
	s_addc_u32 s21, s21, 0
	s_add_u32 s22, s22, 1
	s_addc_u32 s23, s23, 0
	v_or_b32_e32 v20, v2, v20
	s_cmp_lg_u32 s24, 0
	v_or_b32_e32 v21, v3, v21
	s_cbranch_scc1 .LBB4_216
	s_branch .LBB4_219
.LBB4_217:                              ;   in Loop: Header=BB4_166 Depth=1
	s_branch .LBB4_220
.LBB4_218:                              ;   in Loop: Header=BB4_166 Depth=1
	v_mov_b32_e32 v20, 0
	v_mov_b32_e32 v21, 0
.LBB4_219:                              ;   in Loop: Header=BB4_166 Depth=1
	s_cbranch_execnz .LBB4_221
.LBB4_220:                              ;   in Loop: Header=BB4_166 Depth=1
	global_load_dwordx2 v[20:21], v26, s[4:5]
.LBB4_221:                              ;   in Loop: Header=BB4_166 Depth=1
	v_readfirstlane_b32 s4, v50
	v_mov_b32_e32 v2, 0
	v_mov_b32_e32 v3, 0
	v_cmp_eq_u32_e64 s[4:5], s4, v50
	s_and_saveexec_b64 s[20:21], s[4:5]
	s_cbranch_execz .LBB4_227
; %bb.222:                              ;   in Loop: Header=BB4_166 Depth=1
	global_load_dwordx2 v[24:25], v26, s[36:37] offset:24 glc
	s_waitcnt vmcnt(0)
	buffer_wbinvl1_vol
	global_load_dwordx2 v[2:3], v26, s[36:37] offset:40
	global_load_dwordx2 v[22:23], v26, s[36:37]
	s_waitcnt vmcnt(1)
	v_and_b32_e32 v2, v2, v24
	v_and_b32_e32 v3, v3, v25
	v_mul_lo_u32 v3, v3, 24
	v_mul_hi_u32 v27, v2, 24
	v_mul_lo_u32 v2, v2, 24
	v_add_u32_e32 v3, v27, v3
	s_waitcnt vmcnt(0)
	v_add_co_u32_e32 v2, vcc, v22, v2
	v_addc_co_u32_e32 v3, vcc, v23, v3, vcc
	global_load_dwordx2 v[22:23], v[2:3], off glc
	s_waitcnt vmcnt(0)
	global_atomic_cmpswap_x2 v[2:3], v26, v[22:25], s[36:37] offset:24 glc
	s_waitcnt vmcnt(0)
	buffer_wbinvl1_vol
	v_cmp_ne_u64_e32 vcc, v[2:3], v[24:25]
	s_and_saveexec_b64 s[22:23], vcc
	s_cbranch_execz .LBB4_226
; %bb.223:                              ;   in Loop: Header=BB4_166 Depth=1
	s_mov_b64 s[24:25], 0
.LBB4_224:                              ;   Parent Loop BB4_166 Depth=1
                                        ; =>  This Inner Loop Header: Depth=2
	s_sleep 1
	global_load_dwordx2 v[22:23], v26, s[36:37] offset:40
	global_load_dwordx2 v[27:28], v26, s[36:37]
	v_mov_b32_e32 v25, v3
	v_mov_b32_e32 v24, v2
	s_waitcnt vmcnt(1)
	v_and_b32_e32 v2, v22, v24
	s_waitcnt vmcnt(0)
	v_mad_u64_u32 v[2:3], s[26:27], v2, 24, v[27:28]
	v_and_b32_e32 v22, v23, v25
	v_mad_u64_u32 v[22:23], s[26:27], v22, 24, v[3:4]
	v_mov_b32_e32 v3, v22
	global_load_dwordx2 v[22:23], v[2:3], off glc
	s_waitcnt vmcnt(0)
	global_atomic_cmpswap_x2 v[2:3], v26, v[22:25], s[36:37] offset:24 glc
	s_waitcnt vmcnt(0)
	buffer_wbinvl1_vol
	v_cmp_eq_u64_e32 vcc, v[2:3], v[24:25]
	s_or_b64 s[24:25], vcc, s[24:25]
	s_andn2_b64 exec, exec, s[24:25]
	s_cbranch_execnz .LBB4_224
; %bb.225:                              ;   in Loop: Header=BB4_166 Depth=1
	s_or_b64 exec, exec, s[24:25]
.LBB4_226:                              ;   in Loop: Header=BB4_166 Depth=1
	s_or_b64 exec, exec, s[22:23]
.LBB4_227:                              ;   in Loop: Header=BB4_166 Depth=1
	s_or_b64 exec, exec, s[20:21]
	global_load_dwordx2 v[27:28], v26, s[36:37] offset:40
	global_load_dwordx4 v[22:25], v26, s[36:37]
	v_readfirstlane_b32 s20, v2
	v_readfirstlane_b32 s21, v3
	s_mov_b64 s[22:23], exec
	s_waitcnt vmcnt(1)
	v_readfirstlane_b32 s24, v27
	v_readfirstlane_b32 s25, v28
	s_and_b64 s[24:25], s[20:21], s[24:25]
	s_mul_i32 s15, s25, 24
	s_mul_hi_u32 s26, s24, 24
	s_mul_i32 s27, s24, 24
	s_add_i32 s15, s26, s15
	v_mov_b32_e32 v2, s15
	s_waitcnt vmcnt(0)
	v_add_co_u32_e32 v27, vcc, s27, v22
	v_addc_co_u32_e32 v28, vcc, v23, v2, vcc
	s_and_saveexec_b64 s[26:27], s[4:5]
	s_cbranch_execz .LBB4_229
; %bb.228:                              ;   in Loop: Header=BB4_166 Depth=1
	v_mov_b32_e32 v2, s22
	v_mov_b32_e32 v3, s23
	global_store_dwordx4 v[27:28], v[2:5], off offset:8
.LBB4_229:                              ;   in Loop: Header=BB4_166 Depth=1
	s_or_b64 exec, exec, s[26:27]
	s_lshl_b64 s[22:23], s[24:25], 12
	v_mov_b32_e32 v2, s23
	v_add_co_u32_e32 v24, vcc, s22, v24
	v_addc_co_u32_e32 v29, vcc, v25, v2, vcc
	v_cmp_gt_u64_e64 vcc, s[16:17], 56
	v_or_b32_e32 v2, 2, v6
	s_lshl_b32 s15, s18, 2
	v_cndmask_b32_e32 v2, v2, v6, vcc
	s_add_i32 s15, s15, 28
	s_and_b32 s15, s15, 0x1e0
	v_and_b32_e32 v2, 0xffffff1f, v2
	v_or_b32_e32 v6, s15, v2
	v_readfirstlane_b32 s22, v24
	v_readfirstlane_b32 s23, v29
	s_nop 4
	global_store_dwordx4 v39, v[6:9], s[22:23]
	global_store_dwordx4 v39, v[10:13], s[22:23] offset:16
	global_store_dwordx4 v39, v[14:17], s[22:23] offset:32
	;; [unrolled: 1-line block ×3, first 2 shown]
	s_and_saveexec_b64 s[22:23], s[4:5]
	s_cbranch_execz .LBB4_237
; %bb.230:                              ;   in Loop: Header=BB4_166 Depth=1
	global_load_dwordx2 v[10:11], v26, s[36:37] offset:32 glc
	global_load_dwordx2 v[2:3], v26, s[36:37] offset:40
	v_mov_b32_e32 v8, s20
	v_mov_b32_e32 v9, s21
	s_waitcnt vmcnt(0)
	v_readfirstlane_b32 s24, v2
	v_readfirstlane_b32 s25, v3
	s_and_b64 s[24:25], s[24:25], s[20:21]
	s_mul_i32 s15, s25, 24
	s_mul_hi_u32 s25, s24, 24
	s_mul_i32 s24, s24, 24
	s_add_i32 s15, s25, s15
	v_mov_b32_e32 v3, s15
	v_add_co_u32_e32 v2, vcc, s24, v22
	v_addc_co_u32_e32 v3, vcc, v23, v3, vcc
	global_store_dwordx2 v[2:3], v[10:11], off
	s_waitcnt vmcnt(0)
	global_atomic_cmpswap_x2 v[8:9], v26, v[8:11], s[36:37] offset:32 glc
	s_waitcnt vmcnt(0)
	v_cmp_ne_u64_e32 vcc, v[8:9], v[10:11]
	s_and_saveexec_b64 s[24:25], vcc
	s_cbranch_execz .LBB4_233
; %bb.231:                              ;   in Loop: Header=BB4_166 Depth=1
	s_mov_b64 s[26:27], 0
.LBB4_232:                              ;   Parent Loop BB4_166 Depth=1
                                        ; =>  This Inner Loop Header: Depth=2
	s_sleep 1
	global_store_dwordx2 v[2:3], v[8:9], off
	v_mov_b32_e32 v6, s20
	v_mov_b32_e32 v7, s21
	s_waitcnt vmcnt(0)
	global_atomic_cmpswap_x2 v[6:7], v26, v[6:9], s[36:37] offset:32 glc
	s_waitcnt vmcnt(0)
	v_cmp_eq_u64_e32 vcc, v[6:7], v[8:9]
	v_mov_b32_e32 v9, v7
	s_or_b64 s[26:27], vcc, s[26:27]
	v_mov_b32_e32 v8, v6
	s_andn2_b64 exec, exec, s[26:27]
	s_cbranch_execnz .LBB4_232
.LBB4_233:                              ;   in Loop: Header=BB4_166 Depth=1
	s_or_b64 exec, exec, s[24:25]
	global_load_dwordx2 v[2:3], v26, s[36:37] offset:16
	s_mov_b64 s[26:27], exec
	v_mbcnt_lo_u32_b32 v6, s26, 0
	v_mbcnt_hi_u32_b32 v6, s27, v6
	v_cmp_eq_u32_e32 vcc, 0, v6
	s_and_saveexec_b64 s[24:25], vcc
	s_cbranch_execz .LBB4_235
; %bb.234:                              ;   in Loop: Header=BB4_166 Depth=1
	s_bcnt1_i32_b64 s15, s[26:27]
	v_mov_b32_e32 v25, s15
	s_waitcnt vmcnt(0)
	global_atomic_add_x2 v[2:3], v[25:26], off offset:8
.LBB4_235:                              ;   in Loop: Header=BB4_166 Depth=1
	s_or_b64 exec, exec, s[24:25]
	s_waitcnt vmcnt(0)
	global_load_dwordx2 v[6:7], v[2:3], off offset:16
	s_waitcnt vmcnt(0)
	v_cmp_eq_u64_e32 vcc, 0, v[6:7]
	s_cbranch_vccnz .LBB4_237
; %bb.236:                              ;   in Loop: Header=BB4_166 Depth=1
	global_load_dword v25, v[2:3], off offset:24
	s_waitcnt vmcnt(0)
	v_and_b32_e32 v2, 0xffffff, v25
	v_readfirstlane_b32 m0, v2
	global_store_dwordx2 v[6:7], v[25:26], off
	s_sendmsg sendmsg(MSG_INTERRUPT)
.LBB4_237:                              ;   in Loop: Header=BB4_166 Depth=1
	s_or_b64 exec, exec, s[22:23]
	v_add_co_u32_e32 v2, vcc, v24, v39
	v_addc_co_u32_e32 v3, vcc, 0, v29, vcc
	s_branch .LBB4_241
.LBB4_238:                              ;   in Loop: Header=BB4_241 Depth=2
	s_or_b64 exec, exec, s[22:23]
	v_readfirstlane_b32 s15, v6
	s_cmp_eq_u32 s15, 0
	s_cbranch_scc1 .LBB4_240
; %bb.239:                              ;   in Loop: Header=BB4_241 Depth=2
	s_sleep 1
	s_cbranch_execnz .LBB4_241
	s_branch .LBB4_243
.LBB4_240:                              ;   in Loop: Header=BB4_166 Depth=1
	s_branch .LBB4_243
.LBB4_241:                              ;   Parent Loop BB4_166 Depth=1
                                        ; =>  This Inner Loop Header: Depth=2
	v_mov_b32_e32 v6, 1
	s_and_saveexec_b64 s[22:23], s[4:5]
	s_cbranch_execz .LBB4_238
; %bb.242:                              ;   in Loop: Header=BB4_241 Depth=2
	global_load_dword v6, v[27:28], off offset:20 glc
	s_waitcnt vmcnt(0)
	buffer_wbinvl1_vol
	v_and_b32_e32 v6, 1, v6
	s_branch .LBB4_238
.LBB4_243:                              ;   in Loop: Header=BB4_166 Depth=1
	global_load_dwordx4 v[6:9], v[2:3], off
	s_and_saveexec_b64 s[22:23], s[4:5]
	s_cbranch_execz .LBB4_165
; %bb.244:                              ;   in Loop: Header=BB4_166 Depth=1
	global_load_dwordx2 v[2:3], v26, s[36:37] offset:40
	global_load_dwordx2 v[12:13], v26, s[36:37] offset:24 glc
	global_load_dwordx2 v[14:15], v26, s[36:37]
	s_waitcnt vmcnt(3)
	v_mov_b32_e32 v9, s21
	s_waitcnt vmcnt(2)
	v_add_co_u32_e32 v10, vcc, 1, v2
	v_addc_co_u32_e32 v11, vcc, 0, v3, vcc
	v_add_co_u32_e32 v8, vcc, s20, v10
	v_addc_co_u32_e32 v9, vcc, v11, v9, vcc
	v_cmp_eq_u64_e32 vcc, 0, v[8:9]
	v_cndmask_b32_e32 v9, v9, v11, vcc
	v_cndmask_b32_e32 v8, v8, v10, vcc
	v_and_b32_e32 v3, v9, v3
	v_and_b32_e32 v2, v8, v2
	v_mul_lo_u32 v3, v3, 24
	v_mul_hi_u32 v11, v2, 24
	v_mul_lo_u32 v2, v2, 24
	s_waitcnt vmcnt(1)
	v_mov_b32_e32 v10, v12
	v_add_u32_e32 v3, v11, v3
	s_waitcnt vmcnt(0)
	v_add_co_u32_e32 v2, vcc, v14, v2
	v_addc_co_u32_e32 v3, vcc, v15, v3, vcc
	global_store_dwordx2 v[2:3], v[12:13], off
	v_mov_b32_e32 v11, v13
	s_waitcnt vmcnt(0)
	global_atomic_cmpswap_x2 v[10:11], v26, v[8:11], s[36:37] offset:24 glc
	s_waitcnt vmcnt(0)
	v_cmp_ne_u64_e32 vcc, v[10:11], v[12:13]
	s_and_b64 exec, exec, vcc
	s_cbranch_execz .LBB4_165
; %bb.245:                              ;   in Loop: Header=BB4_166 Depth=1
	s_mov_b64 s[4:5], 0
.LBB4_246:                              ;   Parent Loop BB4_166 Depth=1
                                        ; =>  This Inner Loop Header: Depth=2
	s_sleep 1
	global_store_dwordx2 v[2:3], v[10:11], off
	s_waitcnt vmcnt(0)
	global_atomic_cmpswap_x2 v[12:13], v26, v[8:11], s[36:37] offset:24 glc
	s_waitcnt vmcnt(0)
	v_cmp_eq_u64_e32 vcc, v[12:13], v[10:11]
	v_mov_b32_e32 v10, v12
	s_or_b64 s[4:5], vcc, s[4:5]
	v_mov_b32_e32 v11, v13
	s_andn2_b64 exec, exec, s[4:5]
	s_cbranch_execnz .LBB4_246
	s_branch .LBB4_165
.LBB4_247:
	s_branch .LBB4_275
.LBB4_248:
	s_cbranch_execz .LBB4_275
; %bb.249:
	v_readfirstlane_b32 s4, v50
	s_waitcnt vmcnt(0)
	v_mov_b32_e32 v8, 0
	v_mov_b32_e32 v9, 0
	v_cmp_eq_u32_e64 s[4:5], s4, v50
	s_and_saveexec_b64 s[10:11], s[4:5]
	s_cbranch_execz .LBB4_255
; %bb.250:
	v_mov_b32_e32 v2, 0
	global_load_dwordx2 v[5:6], v2, s[36:37] offset:24 glc
	s_waitcnt vmcnt(0)
	buffer_wbinvl1_vol
	global_load_dwordx2 v[3:4], v2, s[36:37] offset:40
	global_load_dwordx2 v[7:8], v2, s[36:37]
	s_waitcnt vmcnt(1)
	v_and_b32_e32 v3, v3, v5
	v_and_b32_e32 v4, v4, v6
	v_mul_lo_u32 v4, v4, 24
	v_mul_hi_u32 v9, v3, 24
	v_mul_lo_u32 v3, v3, 24
	v_add_u32_e32 v4, v9, v4
	s_waitcnt vmcnt(0)
	v_add_co_u32_e32 v3, vcc, v7, v3
	v_addc_co_u32_e32 v4, vcc, v8, v4, vcc
	global_load_dwordx2 v[3:4], v[3:4], off glc
	s_waitcnt vmcnt(0)
	global_atomic_cmpswap_x2 v[8:9], v2, v[3:6], s[36:37] offset:24 glc
	s_waitcnt vmcnt(0)
	buffer_wbinvl1_vol
	v_cmp_ne_u64_e32 vcc, v[8:9], v[5:6]
	s_and_saveexec_b64 s[16:17], vcc
	s_cbranch_execz .LBB4_254
; %bb.251:
	s_mov_b64 s[18:19], 0
.LBB4_252:                              ; =>This Inner Loop Header: Depth=1
	s_sleep 1
	global_load_dwordx2 v[3:4], v2, s[36:37] offset:40
	global_load_dwordx2 v[10:11], v2, s[36:37]
	v_mov_b32_e32 v5, v8
	v_mov_b32_e32 v6, v9
	s_waitcnt vmcnt(1)
	v_and_b32_e32 v3, v3, v5
	s_waitcnt vmcnt(0)
	v_mad_u64_u32 v[7:8], s[20:21], v3, 24, v[10:11]
	v_and_b32_e32 v4, v4, v6
	v_mov_b32_e32 v3, v8
	v_mad_u64_u32 v[3:4], s[20:21], v4, 24, v[3:4]
	v_mov_b32_e32 v8, v3
	global_load_dwordx2 v[3:4], v[7:8], off glc
	s_waitcnt vmcnt(0)
	global_atomic_cmpswap_x2 v[8:9], v2, v[3:6], s[36:37] offset:24 glc
	s_waitcnt vmcnt(0)
	buffer_wbinvl1_vol
	v_cmp_eq_u64_e32 vcc, v[8:9], v[5:6]
	s_or_b64 s[18:19], vcc, s[18:19]
	s_andn2_b64 exec, exec, s[18:19]
	s_cbranch_execnz .LBB4_252
; %bb.253:
	s_or_b64 exec, exec, s[18:19]
.LBB4_254:
	s_or_b64 exec, exec, s[16:17]
.LBB4_255:
	s_or_b64 exec, exec, s[10:11]
	v_mov_b32_e32 v2, 0
	global_load_dwordx2 v[10:11], v2, s[36:37] offset:40
	global_load_dwordx4 v[4:7], v2, s[36:37]
	v_readfirstlane_b32 s10, v8
	v_readfirstlane_b32 s11, v9
	s_mov_b64 s[16:17], exec
	s_waitcnt vmcnt(1)
	v_readfirstlane_b32 s18, v10
	v_readfirstlane_b32 s19, v11
	s_and_b64 s[18:19], s[10:11], s[18:19]
	s_mul_i32 s15, s19, 24
	s_mul_hi_u32 s20, s18, 24
	s_mul_i32 s21, s18, 24
	s_add_i32 s15, s20, s15
	v_mov_b32_e32 v3, s15
	s_waitcnt vmcnt(0)
	v_add_co_u32_e32 v8, vcc, s21, v4
	v_addc_co_u32_e32 v9, vcc, v5, v3, vcc
	s_and_saveexec_b64 s[20:21], s[4:5]
	s_cbranch_execz .LBB4_257
; %bb.256:
	v_mov_b32_e32 v10, s16
	v_mov_b32_e32 v11, s17
	;; [unrolled: 1-line block ×4, first 2 shown]
	global_store_dwordx4 v[8:9], v[10:13], off offset:8
.LBB4_257:
	s_or_b64 exec, exec, s[20:21]
	s_lshl_b64 s[16:17], s[18:19], 12
	v_mov_b32_e32 v3, s17
	v_add_co_u32_e32 v6, vcc, s16, v6
	v_addc_co_u32_e32 v7, vcc, v7, v3, vcc
	s_movk_i32 s15, 0xff1d
	v_and_or_b32 v0, v0, s15, 34
	s_mov_b32 s16, 0
	v_mov_b32_e32 v3, v2
	v_readfirstlane_b32 s20, v6
	v_readfirstlane_b32 s21, v7
	s_mov_b32 s17, s16
	s_mov_b32 s18, s16
	;; [unrolled: 1-line block ×3, first 2 shown]
	s_nop 1
	global_store_dwordx4 v39, v[0:3], s[20:21]
	s_nop 0
	v_mov_b32_e32 v0, s16
	v_mov_b32_e32 v1, s17
	;; [unrolled: 1-line block ×4, first 2 shown]
	global_store_dwordx4 v39, v[0:3], s[20:21] offset:16
	global_store_dwordx4 v39, v[0:3], s[20:21] offset:32
	;; [unrolled: 1-line block ×3, first 2 shown]
	s_and_saveexec_b64 s[16:17], s[4:5]
	s_cbranch_execz .LBB4_265
; %bb.258:
	v_mov_b32_e32 v6, 0
	global_load_dwordx2 v[12:13], v6, s[36:37] offset:32 glc
	global_load_dwordx2 v[0:1], v6, s[36:37] offset:40
	v_mov_b32_e32 v10, s10
	v_mov_b32_e32 v11, s11
	s_waitcnt vmcnt(0)
	v_readfirstlane_b32 s18, v0
	v_readfirstlane_b32 s19, v1
	s_and_b64 s[18:19], s[18:19], s[10:11]
	s_mul_i32 s15, s19, 24
	s_mul_hi_u32 s19, s18, 24
	s_mul_i32 s18, s18, 24
	s_add_i32 s15, s19, s15
	v_mov_b32_e32 v0, s15
	v_add_co_u32_e32 v4, vcc, s18, v4
	v_addc_co_u32_e32 v5, vcc, v5, v0, vcc
	global_store_dwordx2 v[4:5], v[12:13], off
	s_waitcnt vmcnt(0)
	global_atomic_cmpswap_x2 v[2:3], v6, v[10:13], s[36:37] offset:32 glc
	s_waitcnt vmcnt(0)
	v_cmp_ne_u64_e32 vcc, v[2:3], v[12:13]
	s_and_saveexec_b64 s[18:19], vcc
	s_cbranch_execz .LBB4_261
; %bb.259:
	s_mov_b64 s[20:21], 0
.LBB4_260:                              ; =>This Inner Loop Header: Depth=1
	s_sleep 1
	global_store_dwordx2 v[4:5], v[2:3], off
	v_mov_b32_e32 v0, s10
	v_mov_b32_e32 v1, s11
	s_waitcnt vmcnt(0)
	global_atomic_cmpswap_x2 v[0:1], v6, v[0:3], s[36:37] offset:32 glc
	s_waitcnt vmcnt(0)
	v_cmp_eq_u64_e32 vcc, v[0:1], v[2:3]
	v_mov_b32_e32 v3, v1
	s_or_b64 s[20:21], vcc, s[20:21]
	v_mov_b32_e32 v2, v0
	s_andn2_b64 exec, exec, s[20:21]
	s_cbranch_execnz .LBB4_260
.LBB4_261:
	s_or_b64 exec, exec, s[18:19]
	v_mov_b32_e32 v3, 0
	global_load_dwordx2 v[0:1], v3, s[36:37] offset:16
	s_mov_b64 s[18:19], exec
	v_mbcnt_lo_u32_b32 v2, s18, 0
	v_mbcnt_hi_u32_b32 v2, s19, v2
	v_cmp_eq_u32_e32 vcc, 0, v2
	s_and_saveexec_b64 s[20:21], vcc
	s_cbranch_execz .LBB4_263
; %bb.262:
	s_bcnt1_i32_b64 s15, s[18:19]
	v_mov_b32_e32 v2, s15
	s_waitcnt vmcnt(0)
	global_atomic_add_x2 v[0:1], v[2:3], off offset:8
.LBB4_263:
	s_or_b64 exec, exec, s[20:21]
	s_waitcnt vmcnt(0)
	global_load_dwordx2 v[2:3], v[0:1], off offset:16
	s_waitcnt vmcnt(0)
	v_cmp_eq_u64_e32 vcc, 0, v[2:3]
	s_cbranch_vccnz .LBB4_265
; %bb.264:
	global_load_dword v0, v[0:1], off offset:24
	v_mov_b32_e32 v1, 0
	s_waitcnt vmcnt(0)
	global_store_dwordx2 v[2:3], v[0:1], off
	v_and_b32_e32 v0, 0xffffff, v0
	v_readfirstlane_b32 m0, v0
	s_sendmsg sendmsg(MSG_INTERRUPT)
.LBB4_265:
	s_or_b64 exec, exec, s[16:17]
	s_branch .LBB4_269
.LBB4_266:                              ;   in Loop: Header=BB4_269 Depth=1
	s_or_b64 exec, exec, s[16:17]
	v_readfirstlane_b32 s15, v0
	s_cmp_eq_u32 s15, 0
	s_cbranch_scc1 .LBB4_268
; %bb.267:                              ;   in Loop: Header=BB4_269 Depth=1
	s_sleep 1
	s_cbranch_execnz .LBB4_269
	s_branch .LBB4_271
.LBB4_268:
	s_branch .LBB4_271
.LBB4_269:                              ; =>This Inner Loop Header: Depth=1
	v_mov_b32_e32 v0, 1
	s_and_saveexec_b64 s[16:17], s[4:5]
	s_cbranch_execz .LBB4_266
; %bb.270:                              ;   in Loop: Header=BB4_269 Depth=1
	global_load_dword v0, v[8:9], off offset:20 glc
	s_waitcnt vmcnt(0)
	buffer_wbinvl1_vol
	v_and_b32_e32 v0, 1, v0
	s_branch .LBB4_266
.LBB4_271:
	s_and_saveexec_b64 s[16:17], s[4:5]
	s_cbranch_execz .LBB4_274
; %bb.272:
	v_mov_b32_e32 v6, 0
	global_load_dwordx2 v[2:3], v6, s[36:37] offset:40
	global_load_dwordx2 v[7:8], v6, s[36:37] offset:24 glc
	global_load_dwordx2 v[4:5], v6, s[36:37]
	v_mov_b32_e32 v1, s11
	s_mov_b64 s[4:5], 0
	s_waitcnt vmcnt(2)
	v_add_co_u32_e32 v9, vcc, 1, v2
	v_addc_co_u32_e32 v10, vcc, 0, v3, vcc
	v_add_co_u32_e32 v0, vcc, s10, v9
	v_addc_co_u32_e32 v1, vcc, v10, v1, vcc
	v_cmp_eq_u64_e32 vcc, 0, v[0:1]
	v_cndmask_b32_e32 v1, v1, v10, vcc
	v_cndmask_b32_e32 v0, v0, v9, vcc
	v_and_b32_e32 v3, v1, v3
	v_and_b32_e32 v2, v0, v2
	v_mul_lo_u32 v3, v3, 24
	v_mul_hi_u32 v9, v2, 24
	v_mul_lo_u32 v10, v2, 24
	s_waitcnt vmcnt(1)
	v_mov_b32_e32 v2, v7
	v_add_u32_e32 v3, v9, v3
	s_waitcnt vmcnt(0)
	v_add_co_u32_e32 v4, vcc, v4, v10
	v_addc_co_u32_e32 v5, vcc, v5, v3, vcc
	global_store_dwordx2 v[4:5], v[7:8], off
	v_mov_b32_e32 v3, v8
	s_waitcnt vmcnt(0)
	global_atomic_cmpswap_x2 v[2:3], v6, v[0:3], s[36:37] offset:24 glc
	s_waitcnt vmcnt(0)
	v_cmp_ne_u64_e32 vcc, v[2:3], v[7:8]
	s_and_b64 exec, exec, vcc
	s_cbranch_execz .LBB4_274
.LBB4_273:                              ; =>This Inner Loop Header: Depth=1
	s_sleep 1
	global_store_dwordx2 v[4:5], v[2:3], off
	s_waitcnt vmcnt(0)
	global_atomic_cmpswap_x2 v[7:8], v6, v[0:3], s[36:37] offset:24 glc
	s_waitcnt vmcnt(0)
	v_cmp_eq_u64_e32 vcc, v[7:8], v[2:3]
	v_mov_b32_e32 v2, v7
	s_or_b64 s[4:5], vcc, s[4:5]
	v_mov_b32_e32 v3, v8
	s_andn2_b64 exec, exec, s[4:5]
	s_cbranch_execnz .LBB4_273
.LBB4_274:
	s_or_b64 exec, exec, s[16:17]
.LBB4_275:
	v_readfirstlane_b32 s4, v50
	s_waitcnt vmcnt(0)
	v_mov_b32_e32 v5, 0
	v_mov_b32_e32 v6, 0
	v_cmp_eq_u32_e64 s[4:5], s4, v50
	s_and_saveexec_b64 s[10:11], s[4:5]
	s_cbranch_execz .LBB4_281
; %bb.276:
	v_mov_b32_e32 v0, 0
	global_load_dwordx2 v[3:4], v0, s[36:37] offset:24 glc
	s_waitcnt vmcnt(0)
	buffer_wbinvl1_vol
	global_load_dwordx2 v[1:2], v0, s[36:37] offset:40
	global_load_dwordx2 v[5:6], v0, s[36:37]
	s_waitcnt vmcnt(1)
	v_and_b32_e32 v1, v1, v3
	v_and_b32_e32 v2, v2, v4
	v_mul_lo_u32 v2, v2, 24
	v_mul_hi_u32 v7, v1, 24
	v_mul_lo_u32 v1, v1, 24
	v_add_u32_e32 v2, v7, v2
	s_waitcnt vmcnt(0)
	v_add_co_u32_e32 v1, vcc, v5, v1
	v_addc_co_u32_e32 v2, vcc, v6, v2, vcc
	global_load_dwordx2 v[1:2], v[1:2], off glc
	s_waitcnt vmcnt(0)
	global_atomic_cmpswap_x2 v[5:6], v0, v[1:4], s[36:37] offset:24 glc
	s_waitcnt vmcnt(0)
	buffer_wbinvl1_vol
	v_cmp_ne_u64_e32 vcc, v[5:6], v[3:4]
	s_and_saveexec_b64 s[16:17], vcc
	s_cbranch_execz .LBB4_280
; %bb.277:
	s_mov_b64 s[18:19], 0
.LBB4_278:                              ; =>This Inner Loop Header: Depth=1
	s_sleep 1
	global_load_dwordx2 v[1:2], v0, s[36:37] offset:40
	global_load_dwordx2 v[7:8], v0, s[36:37]
	v_mov_b32_e32 v3, v5
	v_mov_b32_e32 v4, v6
	s_waitcnt vmcnt(1)
	v_and_b32_e32 v1, v1, v3
	s_waitcnt vmcnt(0)
	v_mad_u64_u32 v[5:6], s[20:21], v1, 24, v[7:8]
	v_and_b32_e32 v2, v2, v4
	v_mov_b32_e32 v1, v6
	v_mad_u64_u32 v[1:2], s[20:21], v2, 24, v[1:2]
	v_mov_b32_e32 v6, v1
	global_load_dwordx2 v[1:2], v[5:6], off glc
	s_waitcnt vmcnt(0)
	global_atomic_cmpswap_x2 v[5:6], v0, v[1:4], s[36:37] offset:24 glc
	s_waitcnt vmcnt(0)
	buffer_wbinvl1_vol
	v_cmp_eq_u64_e32 vcc, v[5:6], v[3:4]
	s_or_b64 s[18:19], vcc, s[18:19]
	s_andn2_b64 exec, exec, s[18:19]
	s_cbranch_execnz .LBB4_278
; %bb.279:
	s_or_b64 exec, exec, s[18:19]
.LBB4_280:
	s_or_b64 exec, exec, s[16:17]
.LBB4_281:
	s_or_b64 exec, exec, s[10:11]
	v_mov_b32_e32 v4, 0
	global_load_dwordx2 v[7:8], v4, s[36:37] offset:40
	global_load_dwordx4 v[0:3], v4, s[36:37]
	v_readfirstlane_b32 s10, v5
	v_readfirstlane_b32 s11, v6
	s_mov_b64 s[16:17], exec
	s_waitcnt vmcnt(1)
	v_readfirstlane_b32 s18, v7
	v_readfirstlane_b32 s19, v8
	s_and_b64 s[18:19], s[10:11], s[18:19]
	s_mul_i32 s15, s19, 24
	s_mul_hi_u32 s20, s18, 24
	s_mul_i32 s21, s18, 24
	s_add_i32 s15, s20, s15
	v_mov_b32_e32 v5, s15
	s_waitcnt vmcnt(0)
	v_add_co_u32_e32 v7, vcc, s21, v0
	v_addc_co_u32_e32 v8, vcc, v1, v5, vcc
	s_and_saveexec_b64 s[20:21], s[4:5]
	s_cbranch_execz .LBB4_283
; %bb.282:
	v_mov_b32_e32 v9, s16
	v_mov_b32_e32 v10, s17
	;; [unrolled: 1-line block ×4, first 2 shown]
	global_store_dwordx4 v[7:8], v[9:12], off offset:8
.LBB4_283:
	s_or_b64 exec, exec, s[20:21]
	s_lshl_b64 s[16:17], s[18:19], 12
	v_mov_b32_e32 v5, s17
	v_add_co_u32_e32 v2, vcc, s16, v2
	v_addc_co_u32_e32 v11, vcc, v3, v5, vcc
	s_mov_b32 s16, 0
	v_mov_b32_e32 v3, 33
	v_mov_b32_e32 v5, v4
	;; [unrolled: 1-line block ×3, first 2 shown]
	v_readfirstlane_b32 s20, v2
	v_readfirstlane_b32 s21, v11
	v_add_co_u32_e32 v9, vcc, v2, v39
	s_mov_b32 s17, s16
	s_mov_b32 s18, s16
	;; [unrolled: 1-line block ×3, first 2 shown]
	s_nop 0
	global_store_dwordx4 v39, v[3:6], s[20:21]
	v_mov_b32_e32 v2, s16
	v_addc_co_u32_e32 v10, vcc, 0, v11, vcc
	v_mov_b32_e32 v3, s17
	v_mov_b32_e32 v4, s18
	;; [unrolled: 1-line block ×3, first 2 shown]
	global_store_dwordx4 v39, v[2:5], s[20:21] offset:16
	global_store_dwordx4 v39, v[2:5], s[20:21] offset:32
	;; [unrolled: 1-line block ×3, first 2 shown]
	s_and_saveexec_b64 s[16:17], s[4:5]
	s_cbranch_execz .LBB4_291
; %bb.284:
	v_mov_b32_e32 v6, 0
	global_load_dwordx2 v[13:14], v6, s[36:37] offset:32 glc
	global_load_dwordx2 v[2:3], v6, s[36:37] offset:40
	v_mov_b32_e32 v11, s10
	v_mov_b32_e32 v12, s11
	s_waitcnt vmcnt(0)
	v_readfirstlane_b32 s18, v2
	v_readfirstlane_b32 s19, v3
	s_and_b64 s[18:19], s[18:19], s[10:11]
	s_mul_i32 s15, s19, 24
	s_mul_hi_u32 s19, s18, 24
	s_mul_i32 s18, s18, 24
	s_add_i32 s15, s19, s15
	v_mov_b32_e32 v2, s15
	v_add_co_u32_e32 v4, vcc, s18, v0
	v_addc_co_u32_e32 v5, vcc, v1, v2, vcc
	global_store_dwordx2 v[4:5], v[13:14], off
	s_waitcnt vmcnt(0)
	global_atomic_cmpswap_x2 v[2:3], v6, v[11:14], s[36:37] offset:32 glc
	s_waitcnt vmcnt(0)
	v_cmp_ne_u64_e32 vcc, v[2:3], v[13:14]
	s_and_saveexec_b64 s[18:19], vcc
	s_cbranch_execz .LBB4_287
; %bb.285:
	s_mov_b64 s[20:21], 0
.LBB4_286:                              ; =>This Inner Loop Header: Depth=1
	s_sleep 1
	global_store_dwordx2 v[4:5], v[2:3], off
	v_mov_b32_e32 v0, s10
	v_mov_b32_e32 v1, s11
	s_waitcnt vmcnt(0)
	global_atomic_cmpswap_x2 v[0:1], v6, v[0:3], s[36:37] offset:32 glc
	s_waitcnt vmcnt(0)
	v_cmp_eq_u64_e32 vcc, v[0:1], v[2:3]
	v_mov_b32_e32 v3, v1
	s_or_b64 s[20:21], vcc, s[20:21]
	v_mov_b32_e32 v2, v0
	s_andn2_b64 exec, exec, s[20:21]
	s_cbranch_execnz .LBB4_286
.LBB4_287:
	s_or_b64 exec, exec, s[18:19]
	v_mov_b32_e32 v3, 0
	global_load_dwordx2 v[0:1], v3, s[36:37] offset:16
	s_mov_b64 s[18:19], exec
	v_mbcnt_lo_u32_b32 v2, s18, 0
	v_mbcnt_hi_u32_b32 v2, s19, v2
	v_cmp_eq_u32_e32 vcc, 0, v2
	s_and_saveexec_b64 s[20:21], vcc
	s_cbranch_execz .LBB4_289
; %bb.288:
	s_bcnt1_i32_b64 s15, s[18:19]
	v_mov_b32_e32 v2, s15
	s_waitcnt vmcnt(0)
	global_atomic_add_x2 v[0:1], v[2:3], off offset:8
.LBB4_289:
	s_or_b64 exec, exec, s[20:21]
	s_waitcnt vmcnt(0)
	global_load_dwordx2 v[2:3], v[0:1], off offset:16
	s_waitcnt vmcnt(0)
	v_cmp_eq_u64_e32 vcc, 0, v[2:3]
	s_cbranch_vccnz .LBB4_291
; %bb.290:
	global_load_dword v0, v[0:1], off offset:24
	v_mov_b32_e32 v1, 0
	s_waitcnt vmcnt(0)
	global_store_dwordx2 v[2:3], v[0:1], off
	v_and_b32_e32 v0, 0xffffff, v0
	v_readfirstlane_b32 m0, v0
	s_sendmsg sendmsg(MSG_INTERRUPT)
.LBB4_291:
	s_or_b64 exec, exec, s[16:17]
	s_branch .LBB4_295
.LBB4_292:                              ;   in Loop: Header=BB4_295 Depth=1
	s_or_b64 exec, exec, s[16:17]
	v_readfirstlane_b32 s15, v0
	s_cmp_eq_u32 s15, 0
	s_cbranch_scc1 .LBB4_294
; %bb.293:                              ;   in Loop: Header=BB4_295 Depth=1
	s_sleep 1
	s_cbranch_execnz .LBB4_295
	s_branch .LBB4_297
.LBB4_294:
	s_branch .LBB4_297
.LBB4_295:                              ; =>This Inner Loop Header: Depth=1
	v_mov_b32_e32 v0, 1
	s_and_saveexec_b64 s[16:17], s[4:5]
	s_cbranch_execz .LBB4_292
; %bb.296:                              ;   in Loop: Header=BB4_295 Depth=1
	global_load_dword v0, v[7:8], off offset:20 glc
	s_waitcnt vmcnt(0)
	buffer_wbinvl1_vol
	v_and_b32_e32 v0, 1, v0
	s_branch .LBB4_292
.LBB4_297:
	global_load_dwordx2 v[0:1], v[9:10], off
	s_and_saveexec_b64 s[16:17], s[4:5]
	s_cbranch_execz .LBB4_300
; %bb.298:
	v_mov_b32_e32 v8, 0
	global_load_dwordx2 v[4:5], v8, s[36:37] offset:40
	global_load_dwordx2 v[9:10], v8, s[36:37] offset:24 glc
	global_load_dwordx2 v[6:7], v8, s[36:37]
	v_mov_b32_e32 v3, s11
	s_mov_b64 s[4:5], 0
	s_waitcnt vmcnt(2)
	v_add_co_u32_e32 v11, vcc, 1, v4
	v_addc_co_u32_e32 v12, vcc, 0, v5, vcc
	v_add_co_u32_e32 v2, vcc, s10, v11
	v_addc_co_u32_e32 v3, vcc, v12, v3, vcc
	v_cmp_eq_u64_e32 vcc, 0, v[2:3]
	v_cndmask_b32_e32 v3, v3, v12, vcc
	v_cndmask_b32_e32 v2, v2, v11, vcc
	v_and_b32_e32 v5, v3, v5
	v_and_b32_e32 v4, v2, v4
	v_mul_lo_u32 v5, v5, 24
	v_mul_hi_u32 v11, v4, 24
	v_mul_lo_u32 v12, v4, 24
	s_waitcnt vmcnt(1)
	v_mov_b32_e32 v4, v9
	v_add_u32_e32 v5, v11, v5
	s_waitcnt vmcnt(0)
	v_add_co_u32_e32 v6, vcc, v6, v12
	v_addc_co_u32_e32 v7, vcc, v7, v5, vcc
	global_store_dwordx2 v[6:7], v[9:10], off
	v_mov_b32_e32 v5, v10
	s_waitcnt vmcnt(0)
	global_atomic_cmpswap_x2 v[4:5], v8, v[2:5], s[36:37] offset:24 glc
	s_waitcnt vmcnt(0)
	v_cmp_ne_u64_e32 vcc, v[4:5], v[9:10]
	s_and_b64 exec, exec, vcc
	s_cbranch_execz .LBB4_300
.LBB4_299:                              ; =>This Inner Loop Header: Depth=1
	s_sleep 1
	global_store_dwordx2 v[6:7], v[4:5], off
	s_waitcnt vmcnt(0)
	global_atomic_cmpswap_x2 v[9:10], v8, v[2:5], s[36:37] offset:24 glc
	s_waitcnt vmcnt(0)
	v_cmp_eq_u64_e32 vcc, v[9:10], v[4:5]
	v_mov_b32_e32 v4, v9
	s_or_b64 s[4:5], vcc, s[4:5]
	v_mov_b32_e32 v5, v10
	s_andn2_b64 exec, exec, s[4:5]
	s_cbranch_execnz .LBB4_299
.LBB4_300:
	s_or_b64 exec, exec, s[16:17]
	s_getpc_b64 s[10:11]
	s_add_u32 s10, s10, .str.6@rel32@lo+4
	s_addc_u32 s11, s11, .str.6@rel32@hi+12
	s_cmp_lg_u64 s[10:11], 0
	s_cselect_b64 s[40:41], -1, 0
	s_and_b64 vcc, exec, s[40:41]
	s_cbranch_vccz .LBB4_385
; %bb.301:
	s_waitcnt vmcnt(0)
	v_and_b32_e32 v31, 2, v0
	v_mov_b32_e32 v28, 0
	v_and_b32_e32 v2, -3, v0
	v_mov_b32_e32 v3, v1
	s_mov_b64 s[16:17], 3
	v_mov_b32_e32 v6, 2
	v_mov_b32_e32 v7, 1
	s_branch .LBB4_303
.LBB4_302:                              ;   in Loop: Header=BB4_303 Depth=1
	s_or_b64 exec, exec, s[22:23]
	s_sub_u32 s16, s16, s18
	s_subb_u32 s17, s17, s19
	s_add_u32 s10, s10, s18
	s_addc_u32 s11, s11, s19
	s_cmp_lg_u64 s[16:17], 0
	s_cbranch_scc0 .LBB4_384
.LBB4_303:                              ; =>This Loop Header: Depth=1
                                        ;     Child Loop BB4_306 Depth 2
                                        ;     Child Loop BB4_313 Depth 2
	;; [unrolled: 1-line block ×11, first 2 shown]
	v_cmp_lt_u64_e64 s[4:5], s[16:17], 56
	v_cmp_gt_u64_e64 s[20:21], s[16:17], 7
	s_and_b64 s[4:5], s[4:5], exec
	s_cselect_b32 s19, s17, 0
	s_cselect_b32 s18, s16, 56
	s_and_b64 vcc, exec, s[20:21]
	s_cbranch_vccnz .LBB4_308
; %bb.304:                              ;   in Loop: Header=BB4_303 Depth=1
	v_mov_b32_e32 v10, 0
	s_cmp_eq_u64 s[16:17], 0
	v_mov_b32_e32 v11, 0
	s_mov_b64 s[4:5], 0
	s_cbranch_scc1 .LBB4_307
; %bb.305:                              ;   in Loop: Header=BB4_303 Depth=1
	v_mov_b32_e32 v10, 0
	s_lshl_b64 s[20:21], s[18:19], 3
	s_mov_b64 s[22:23], 0
	v_mov_b32_e32 v11, 0
	s_mov_b64 s[24:25], s[10:11]
.LBB4_306:                              ;   Parent Loop BB4_303 Depth=1
                                        ; =>  This Inner Loop Header: Depth=2
	global_load_ubyte v4, v28, s[24:25]
	s_waitcnt vmcnt(0)
	v_and_b32_e32 v27, 0xffff, v4
	v_lshlrev_b64 v[4:5], s22, v[27:28]
	s_add_u32 s22, s22, 8
	s_addc_u32 s23, s23, 0
	s_add_u32 s24, s24, 1
	s_addc_u32 s25, s25, 0
	v_or_b32_e32 v10, v4, v10
	s_cmp_lg_u32 s20, s22
	v_or_b32_e32 v11, v5, v11
	s_cbranch_scc1 .LBB4_306
.LBB4_307:                              ;   in Loop: Header=BB4_303 Depth=1
	s_mov_b32 s15, 0
	s_andn2_b64 vcc, exec, s[4:5]
	s_mov_b64 s[4:5], s[10:11]
	s_cbranch_vccz .LBB4_309
	s_branch .LBB4_310
.LBB4_308:                              ;   in Loop: Header=BB4_303 Depth=1
                                        ; implicit-def: $vgpr10_vgpr11
                                        ; implicit-def: $sgpr15
	s_mov_b64 s[4:5], s[10:11]
.LBB4_309:                              ;   in Loop: Header=BB4_303 Depth=1
	global_load_dwordx2 v[10:11], v28, s[10:11]
	s_add_i32 s15, s18, -8
	s_add_u32 s4, s10, 8
	s_addc_u32 s5, s11, 0
.LBB4_310:                              ;   in Loop: Header=BB4_303 Depth=1
	s_cmp_gt_u32 s15, 7
	s_cbranch_scc1 .LBB4_314
; %bb.311:                              ;   in Loop: Header=BB4_303 Depth=1
	s_cmp_eq_u32 s15, 0
	s_cbranch_scc1 .LBB4_315
; %bb.312:                              ;   in Loop: Header=BB4_303 Depth=1
	v_mov_b32_e32 v12, 0
	s_mov_b64 s[20:21], 0
	v_mov_b32_e32 v13, 0
	s_mov_b64 s[22:23], 0
.LBB4_313:                              ;   Parent Loop BB4_303 Depth=1
                                        ; =>  This Inner Loop Header: Depth=2
	s_add_u32 s24, s4, s22
	s_addc_u32 s25, s5, s23
	global_load_ubyte v4, v28, s[24:25]
	s_add_u32 s22, s22, 1
	s_addc_u32 s23, s23, 0
	s_waitcnt vmcnt(0)
	v_and_b32_e32 v27, 0xffff, v4
	v_lshlrev_b64 v[4:5], s20, v[27:28]
	s_add_u32 s20, s20, 8
	s_addc_u32 s21, s21, 0
	v_or_b32_e32 v12, v4, v12
	s_cmp_lg_u32 s15, s22
	v_or_b32_e32 v13, v5, v13
	s_cbranch_scc1 .LBB4_313
	s_branch .LBB4_316
.LBB4_314:                              ;   in Loop: Header=BB4_303 Depth=1
                                        ; implicit-def: $vgpr12_vgpr13
                                        ; implicit-def: $sgpr24
	s_branch .LBB4_317
.LBB4_315:                              ;   in Loop: Header=BB4_303 Depth=1
	v_mov_b32_e32 v12, 0
	v_mov_b32_e32 v13, 0
.LBB4_316:                              ;   in Loop: Header=BB4_303 Depth=1
	s_mov_b32 s24, 0
	s_cbranch_execnz .LBB4_318
.LBB4_317:                              ;   in Loop: Header=BB4_303 Depth=1
	global_load_dwordx2 v[12:13], v28, s[4:5]
	s_add_i32 s24, s15, -8
	s_add_u32 s4, s4, 8
	s_addc_u32 s5, s5, 0
.LBB4_318:                              ;   in Loop: Header=BB4_303 Depth=1
	s_cmp_gt_u32 s24, 7
	s_cbranch_scc1 .LBB4_322
; %bb.319:                              ;   in Loop: Header=BB4_303 Depth=1
	s_cmp_eq_u32 s24, 0
	s_cbranch_scc1 .LBB4_323
; %bb.320:                              ;   in Loop: Header=BB4_303 Depth=1
	v_mov_b32_e32 v14, 0
	s_mov_b64 s[20:21], 0
	v_mov_b32_e32 v15, 0
	s_mov_b64 s[22:23], 0
.LBB4_321:                              ;   Parent Loop BB4_303 Depth=1
                                        ; =>  This Inner Loop Header: Depth=2
	s_add_u32 s26, s4, s22
	s_addc_u32 s27, s5, s23
	global_load_ubyte v4, v28, s[26:27]
	s_add_u32 s22, s22, 1
	s_addc_u32 s23, s23, 0
	s_waitcnt vmcnt(0)
	v_and_b32_e32 v27, 0xffff, v4
	v_lshlrev_b64 v[4:5], s20, v[27:28]
	s_add_u32 s20, s20, 8
	s_addc_u32 s21, s21, 0
	v_or_b32_e32 v14, v4, v14
	s_cmp_lg_u32 s24, s22
	v_or_b32_e32 v15, v5, v15
	s_cbranch_scc1 .LBB4_321
	s_branch .LBB4_324
.LBB4_322:                              ;   in Loop: Header=BB4_303 Depth=1
                                        ; implicit-def: $sgpr15
	s_branch .LBB4_325
.LBB4_323:                              ;   in Loop: Header=BB4_303 Depth=1
	v_mov_b32_e32 v14, 0
	v_mov_b32_e32 v15, 0
.LBB4_324:                              ;   in Loop: Header=BB4_303 Depth=1
	s_mov_b32 s15, 0
	s_cbranch_execnz .LBB4_326
.LBB4_325:                              ;   in Loop: Header=BB4_303 Depth=1
	global_load_dwordx2 v[14:15], v28, s[4:5]
	s_add_i32 s15, s24, -8
	s_add_u32 s4, s4, 8
	s_addc_u32 s5, s5, 0
.LBB4_326:                              ;   in Loop: Header=BB4_303 Depth=1
	s_cmp_gt_u32 s15, 7
	s_cbranch_scc1 .LBB4_330
; %bb.327:                              ;   in Loop: Header=BB4_303 Depth=1
	s_cmp_eq_u32 s15, 0
	s_cbranch_scc1 .LBB4_331
; %bb.328:                              ;   in Loop: Header=BB4_303 Depth=1
	v_mov_b32_e32 v16, 0
	s_mov_b64 s[20:21], 0
	v_mov_b32_e32 v17, 0
	s_mov_b64 s[22:23], 0
.LBB4_329:                              ;   Parent Loop BB4_303 Depth=1
                                        ; =>  This Inner Loop Header: Depth=2
	s_add_u32 s24, s4, s22
	s_addc_u32 s25, s5, s23
	global_load_ubyte v4, v28, s[24:25]
	s_add_u32 s22, s22, 1
	s_addc_u32 s23, s23, 0
	s_waitcnt vmcnt(0)
	v_and_b32_e32 v27, 0xffff, v4
	v_lshlrev_b64 v[4:5], s20, v[27:28]
	s_add_u32 s20, s20, 8
	s_addc_u32 s21, s21, 0
	v_or_b32_e32 v16, v4, v16
	s_cmp_lg_u32 s15, s22
	v_or_b32_e32 v17, v5, v17
	s_cbranch_scc1 .LBB4_329
	s_branch .LBB4_332
.LBB4_330:                              ;   in Loop: Header=BB4_303 Depth=1
                                        ; implicit-def: $vgpr16_vgpr17
                                        ; implicit-def: $sgpr24
	s_branch .LBB4_333
.LBB4_331:                              ;   in Loop: Header=BB4_303 Depth=1
	v_mov_b32_e32 v16, 0
	v_mov_b32_e32 v17, 0
.LBB4_332:                              ;   in Loop: Header=BB4_303 Depth=1
	s_mov_b32 s24, 0
	s_cbranch_execnz .LBB4_334
.LBB4_333:                              ;   in Loop: Header=BB4_303 Depth=1
	global_load_dwordx2 v[16:17], v28, s[4:5]
	s_add_i32 s24, s15, -8
	s_add_u32 s4, s4, 8
	s_addc_u32 s5, s5, 0
.LBB4_334:                              ;   in Loop: Header=BB4_303 Depth=1
	s_cmp_gt_u32 s24, 7
	s_cbranch_scc1 .LBB4_338
; %bb.335:                              ;   in Loop: Header=BB4_303 Depth=1
	s_cmp_eq_u32 s24, 0
	s_cbranch_scc1 .LBB4_339
; %bb.336:                              ;   in Loop: Header=BB4_303 Depth=1
	v_mov_b32_e32 v18, 0
	s_mov_b64 s[20:21], 0
	v_mov_b32_e32 v19, 0
	s_mov_b64 s[22:23], 0
.LBB4_337:                              ;   Parent Loop BB4_303 Depth=1
                                        ; =>  This Inner Loop Header: Depth=2
	s_add_u32 s26, s4, s22
	s_addc_u32 s27, s5, s23
	global_load_ubyte v4, v28, s[26:27]
	s_add_u32 s22, s22, 1
	s_addc_u32 s23, s23, 0
	s_waitcnt vmcnt(0)
	v_and_b32_e32 v27, 0xffff, v4
	v_lshlrev_b64 v[4:5], s20, v[27:28]
	s_add_u32 s20, s20, 8
	s_addc_u32 s21, s21, 0
	v_or_b32_e32 v18, v4, v18
	s_cmp_lg_u32 s24, s22
	v_or_b32_e32 v19, v5, v19
	s_cbranch_scc1 .LBB4_337
	s_branch .LBB4_340
.LBB4_338:                              ;   in Loop: Header=BB4_303 Depth=1
                                        ; implicit-def: $sgpr15
	s_branch .LBB4_341
.LBB4_339:                              ;   in Loop: Header=BB4_303 Depth=1
	v_mov_b32_e32 v18, 0
	v_mov_b32_e32 v19, 0
.LBB4_340:                              ;   in Loop: Header=BB4_303 Depth=1
	s_mov_b32 s15, 0
	s_cbranch_execnz .LBB4_342
.LBB4_341:                              ;   in Loop: Header=BB4_303 Depth=1
	global_load_dwordx2 v[18:19], v28, s[4:5]
	s_add_i32 s15, s24, -8
	s_add_u32 s4, s4, 8
	s_addc_u32 s5, s5, 0
.LBB4_342:                              ;   in Loop: Header=BB4_303 Depth=1
	s_cmp_gt_u32 s15, 7
	s_cbranch_scc1 .LBB4_346
; %bb.343:                              ;   in Loop: Header=BB4_303 Depth=1
	s_cmp_eq_u32 s15, 0
	s_cbranch_scc1 .LBB4_347
; %bb.344:                              ;   in Loop: Header=BB4_303 Depth=1
	v_mov_b32_e32 v20, 0
	s_mov_b64 s[20:21], 0
	v_mov_b32_e32 v21, 0
	s_mov_b64 s[22:23], 0
.LBB4_345:                              ;   Parent Loop BB4_303 Depth=1
                                        ; =>  This Inner Loop Header: Depth=2
	s_add_u32 s24, s4, s22
	s_addc_u32 s25, s5, s23
	global_load_ubyte v4, v28, s[24:25]
	s_add_u32 s22, s22, 1
	s_addc_u32 s23, s23, 0
	s_waitcnt vmcnt(0)
	v_and_b32_e32 v27, 0xffff, v4
	v_lshlrev_b64 v[4:5], s20, v[27:28]
	s_add_u32 s20, s20, 8
	s_addc_u32 s21, s21, 0
	v_or_b32_e32 v20, v4, v20
	s_cmp_lg_u32 s15, s22
	v_or_b32_e32 v21, v5, v21
	s_cbranch_scc1 .LBB4_345
	s_branch .LBB4_348
.LBB4_346:                              ;   in Loop: Header=BB4_303 Depth=1
                                        ; implicit-def: $vgpr20_vgpr21
                                        ; implicit-def: $sgpr24
	s_branch .LBB4_349
.LBB4_347:                              ;   in Loop: Header=BB4_303 Depth=1
	v_mov_b32_e32 v20, 0
	v_mov_b32_e32 v21, 0
.LBB4_348:                              ;   in Loop: Header=BB4_303 Depth=1
	s_mov_b32 s24, 0
	s_cbranch_execnz .LBB4_350
.LBB4_349:                              ;   in Loop: Header=BB4_303 Depth=1
	global_load_dwordx2 v[20:21], v28, s[4:5]
	s_add_i32 s24, s15, -8
	s_add_u32 s4, s4, 8
	s_addc_u32 s5, s5, 0
.LBB4_350:                              ;   in Loop: Header=BB4_303 Depth=1
	s_cmp_gt_u32 s24, 7
	s_cbranch_scc1 .LBB4_354
; %bb.351:                              ;   in Loop: Header=BB4_303 Depth=1
	s_cmp_eq_u32 s24, 0
	s_cbranch_scc1 .LBB4_355
; %bb.352:                              ;   in Loop: Header=BB4_303 Depth=1
	v_mov_b32_e32 v22, 0
	s_mov_b64 s[20:21], 0
	v_mov_b32_e32 v23, 0
	s_mov_b64 s[22:23], s[4:5]
.LBB4_353:                              ;   Parent Loop BB4_303 Depth=1
                                        ; =>  This Inner Loop Header: Depth=2
	global_load_ubyte v4, v28, s[22:23]
	s_add_i32 s24, s24, -1
	s_waitcnt vmcnt(0)
	v_and_b32_e32 v27, 0xffff, v4
	v_lshlrev_b64 v[4:5], s20, v[27:28]
	s_add_u32 s20, s20, 8
	s_addc_u32 s21, s21, 0
	s_add_u32 s22, s22, 1
	s_addc_u32 s23, s23, 0
	v_or_b32_e32 v22, v4, v22
	s_cmp_lg_u32 s24, 0
	v_or_b32_e32 v23, v5, v23
	s_cbranch_scc1 .LBB4_353
	s_branch .LBB4_356
.LBB4_354:                              ;   in Loop: Header=BB4_303 Depth=1
	s_branch .LBB4_357
.LBB4_355:                              ;   in Loop: Header=BB4_303 Depth=1
	v_mov_b32_e32 v22, 0
	v_mov_b32_e32 v23, 0
.LBB4_356:                              ;   in Loop: Header=BB4_303 Depth=1
	s_cbranch_execnz .LBB4_358
.LBB4_357:                              ;   in Loop: Header=BB4_303 Depth=1
	global_load_dwordx2 v[22:23], v28, s[4:5]
.LBB4_358:                              ;   in Loop: Header=BB4_303 Depth=1
	v_readfirstlane_b32 s4, v50
	s_waitcnt vmcnt(0)
	v_mov_b32_e32 v4, 0
	v_mov_b32_e32 v5, 0
	v_cmp_eq_u32_e64 s[4:5], s4, v50
	s_and_saveexec_b64 s[20:21], s[4:5]
	s_cbranch_execz .LBB4_364
; %bb.359:                              ;   in Loop: Header=BB4_303 Depth=1
	global_load_dwordx2 v[26:27], v28, s[36:37] offset:24 glc
	s_waitcnt vmcnt(0)
	buffer_wbinvl1_vol
	global_load_dwordx2 v[4:5], v28, s[36:37] offset:40
	global_load_dwordx2 v[8:9], v28, s[36:37]
	s_waitcnt vmcnt(1)
	v_and_b32_e32 v4, v4, v26
	v_and_b32_e32 v5, v5, v27
	v_mul_lo_u32 v5, v5, 24
	v_mul_hi_u32 v24, v4, 24
	v_mul_lo_u32 v4, v4, 24
	v_add_u32_e32 v5, v24, v5
	s_waitcnt vmcnt(0)
	v_add_co_u32_e32 v4, vcc, v8, v4
	v_addc_co_u32_e32 v5, vcc, v9, v5, vcc
	global_load_dwordx2 v[24:25], v[4:5], off glc
	s_waitcnt vmcnt(0)
	global_atomic_cmpswap_x2 v[4:5], v28, v[24:27], s[36:37] offset:24 glc
	s_waitcnt vmcnt(0)
	buffer_wbinvl1_vol
	v_cmp_ne_u64_e32 vcc, v[4:5], v[26:27]
	s_and_saveexec_b64 s[22:23], vcc
	s_cbranch_execz .LBB4_363
; %bb.360:                              ;   in Loop: Header=BB4_303 Depth=1
	s_mov_b64 s[24:25], 0
.LBB4_361:                              ;   Parent Loop BB4_303 Depth=1
                                        ; =>  This Inner Loop Header: Depth=2
	s_sleep 1
	global_load_dwordx2 v[8:9], v28, s[36:37] offset:40
	global_load_dwordx2 v[24:25], v28, s[36:37]
	v_mov_b32_e32 v27, v5
	v_mov_b32_e32 v26, v4
	s_waitcnt vmcnt(1)
	v_and_b32_e32 v4, v8, v26
	s_waitcnt vmcnt(0)
	v_mad_u64_u32 v[4:5], s[26:27], v4, 24, v[24:25]
	v_and_b32_e32 v8, v9, v27
	v_mad_u64_u32 v[8:9], s[26:27], v8, 24, v[5:6]
	v_mov_b32_e32 v5, v8
	global_load_dwordx2 v[24:25], v[4:5], off glc
	s_waitcnt vmcnt(0)
	global_atomic_cmpswap_x2 v[4:5], v28, v[24:27], s[36:37] offset:24 glc
	s_waitcnt vmcnt(0)
	buffer_wbinvl1_vol
	v_cmp_eq_u64_e32 vcc, v[4:5], v[26:27]
	s_or_b64 s[24:25], vcc, s[24:25]
	s_andn2_b64 exec, exec, s[24:25]
	s_cbranch_execnz .LBB4_361
; %bb.362:                              ;   in Loop: Header=BB4_303 Depth=1
	s_or_b64 exec, exec, s[24:25]
.LBB4_363:                              ;   in Loop: Header=BB4_303 Depth=1
	s_or_b64 exec, exec, s[22:23]
.LBB4_364:                              ;   in Loop: Header=BB4_303 Depth=1
	s_or_b64 exec, exec, s[20:21]
	global_load_dwordx2 v[8:9], v28, s[36:37] offset:40
	global_load_dwordx4 v[24:27], v28, s[36:37]
	v_readfirstlane_b32 s20, v4
	v_readfirstlane_b32 s21, v5
	s_mov_b64 s[22:23], exec
	s_waitcnt vmcnt(1)
	v_readfirstlane_b32 s24, v8
	v_readfirstlane_b32 s25, v9
	s_and_b64 s[24:25], s[20:21], s[24:25]
	s_mul_i32 s15, s25, 24
	s_mul_hi_u32 s26, s24, 24
	s_mul_i32 s27, s24, 24
	s_add_i32 s15, s26, s15
	v_mov_b32_e32 v4, s15
	s_waitcnt vmcnt(0)
	v_add_co_u32_e32 v29, vcc, s27, v24
	v_addc_co_u32_e32 v30, vcc, v25, v4, vcc
	s_and_saveexec_b64 s[26:27], s[4:5]
	s_cbranch_execz .LBB4_366
; %bb.365:                              ;   in Loop: Header=BB4_303 Depth=1
	v_mov_b32_e32 v4, s22
	v_mov_b32_e32 v5, s23
	global_store_dwordx4 v[29:30], v[4:7], off offset:8
.LBB4_366:                              ;   in Loop: Header=BB4_303 Depth=1
	s_or_b64 exec, exec, s[26:27]
	s_lshl_b64 s[22:23], s[24:25], 12
	v_mov_b32_e32 v4, s23
	v_add_co_u32_e32 v26, vcc, s22, v26
	v_addc_co_u32_e32 v32, vcc, v27, v4, vcc
	v_cmp_gt_u64_e64 vcc, s[16:17], 56
	v_or_b32_e32 v5, v2, v31
	s_lshl_b32 s15, s18, 2
	v_cndmask_b32_e32 v2, v5, v2, vcc
	s_add_i32 s15, s15, 28
	v_or_b32_e32 v4, 0, v3
	s_and_b32 s15, s15, 0x1e0
	v_and_b32_e32 v2, 0xffffff1f, v2
	v_cndmask_b32_e32 v9, v4, v3, vcc
	v_or_b32_e32 v8, s15, v2
	v_readfirstlane_b32 s22, v26
	v_readfirstlane_b32 s23, v32
	s_nop 4
	global_store_dwordx4 v39, v[8:11], s[22:23]
	global_store_dwordx4 v39, v[12:15], s[22:23] offset:16
	global_store_dwordx4 v39, v[16:19], s[22:23] offset:32
	;; [unrolled: 1-line block ×3, first 2 shown]
	s_and_saveexec_b64 s[22:23], s[4:5]
	s_cbranch_execz .LBB4_374
; %bb.367:                              ;   in Loop: Header=BB4_303 Depth=1
	global_load_dwordx2 v[12:13], v28, s[36:37] offset:32 glc
	global_load_dwordx2 v[2:3], v28, s[36:37] offset:40
	v_mov_b32_e32 v10, s20
	v_mov_b32_e32 v11, s21
	s_waitcnt vmcnt(0)
	v_readfirstlane_b32 s24, v2
	v_readfirstlane_b32 s25, v3
	s_and_b64 s[24:25], s[24:25], s[20:21]
	s_mul_i32 s15, s25, 24
	s_mul_hi_u32 s25, s24, 24
	s_mul_i32 s24, s24, 24
	s_add_i32 s15, s25, s15
	v_mov_b32_e32 v2, s15
	v_add_co_u32_e32 v8, vcc, s24, v24
	v_addc_co_u32_e32 v9, vcc, v25, v2, vcc
	global_store_dwordx2 v[8:9], v[12:13], off
	s_waitcnt vmcnt(0)
	global_atomic_cmpswap_x2 v[4:5], v28, v[10:13], s[36:37] offset:32 glc
	s_waitcnt vmcnt(0)
	v_cmp_ne_u64_e32 vcc, v[4:5], v[12:13]
	s_and_saveexec_b64 s[24:25], vcc
	s_cbranch_execz .LBB4_370
; %bb.368:                              ;   in Loop: Header=BB4_303 Depth=1
	s_mov_b64 s[26:27], 0
.LBB4_369:                              ;   Parent Loop BB4_303 Depth=1
                                        ; =>  This Inner Loop Header: Depth=2
	s_sleep 1
	global_store_dwordx2 v[8:9], v[4:5], off
	v_mov_b32_e32 v2, s20
	v_mov_b32_e32 v3, s21
	s_waitcnt vmcnt(0)
	global_atomic_cmpswap_x2 v[2:3], v28, v[2:5], s[36:37] offset:32 glc
	s_waitcnt vmcnt(0)
	v_cmp_eq_u64_e32 vcc, v[2:3], v[4:5]
	v_mov_b32_e32 v5, v3
	s_or_b64 s[26:27], vcc, s[26:27]
	v_mov_b32_e32 v4, v2
	s_andn2_b64 exec, exec, s[26:27]
	s_cbranch_execnz .LBB4_369
.LBB4_370:                              ;   in Loop: Header=BB4_303 Depth=1
	s_or_b64 exec, exec, s[24:25]
	global_load_dwordx2 v[2:3], v28, s[36:37] offset:16
	s_mov_b64 s[26:27], exec
	v_mbcnt_lo_u32_b32 v4, s26, 0
	v_mbcnt_hi_u32_b32 v4, s27, v4
	v_cmp_eq_u32_e32 vcc, 0, v4
	s_and_saveexec_b64 s[24:25], vcc
	s_cbranch_execz .LBB4_372
; %bb.371:                              ;   in Loop: Header=BB4_303 Depth=1
	s_bcnt1_i32_b64 s15, s[26:27]
	v_mov_b32_e32 v27, s15
	s_waitcnt vmcnt(0)
	global_atomic_add_x2 v[2:3], v[27:28], off offset:8
.LBB4_372:                              ;   in Loop: Header=BB4_303 Depth=1
	s_or_b64 exec, exec, s[24:25]
	s_waitcnt vmcnt(0)
	global_load_dwordx2 v[4:5], v[2:3], off offset:16
	s_waitcnt vmcnt(0)
	v_cmp_eq_u64_e32 vcc, 0, v[4:5]
	s_cbranch_vccnz .LBB4_374
; %bb.373:                              ;   in Loop: Header=BB4_303 Depth=1
	global_load_dword v27, v[2:3], off offset:24
	s_waitcnt vmcnt(0)
	v_and_b32_e32 v2, 0xffffff, v27
	v_readfirstlane_b32 m0, v2
	global_store_dwordx2 v[4:5], v[27:28], off
	s_sendmsg sendmsg(MSG_INTERRUPT)
.LBB4_374:                              ;   in Loop: Header=BB4_303 Depth=1
	s_or_b64 exec, exec, s[22:23]
	v_add_co_u32_e32 v2, vcc, v26, v39
	v_addc_co_u32_e32 v3, vcc, 0, v32, vcc
	s_branch .LBB4_378
.LBB4_375:                              ;   in Loop: Header=BB4_378 Depth=2
	s_or_b64 exec, exec, s[22:23]
	v_readfirstlane_b32 s15, v4
	s_cmp_eq_u32 s15, 0
	s_cbranch_scc1 .LBB4_377
; %bb.376:                              ;   in Loop: Header=BB4_378 Depth=2
	s_sleep 1
	s_cbranch_execnz .LBB4_378
	s_branch .LBB4_380
.LBB4_377:                              ;   in Loop: Header=BB4_303 Depth=1
	s_branch .LBB4_380
.LBB4_378:                              ;   Parent Loop BB4_303 Depth=1
                                        ; =>  This Inner Loop Header: Depth=2
	v_mov_b32_e32 v4, 1
	s_and_saveexec_b64 s[22:23], s[4:5]
	s_cbranch_execz .LBB4_375
; %bb.379:                              ;   in Loop: Header=BB4_378 Depth=2
	global_load_dword v4, v[29:30], off offset:20 glc
	s_waitcnt vmcnt(0)
	buffer_wbinvl1_vol
	v_and_b32_e32 v4, 1, v4
	s_branch .LBB4_375
.LBB4_380:                              ;   in Loop: Header=BB4_303 Depth=1
	global_load_dwordx4 v[2:5], v[2:3], off
	s_and_saveexec_b64 s[22:23], s[4:5]
	s_cbranch_execz .LBB4_302
; %bb.381:                              ;   in Loop: Header=BB4_303 Depth=1
	global_load_dwordx2 v[4:5], v28, s[36:37] offset:40
	global_load_dwordx2 v[12:13], v28, s[36:37] offset:24 glc
	global_load_dwordx2 v[14:15], v28, s[36:37]
	v_mov_b32_e32 v9, s21
	s_waitcnt vmcnt(2)
	v_add_co_u32_e32 v10, vcc, 1, v4
	v_addc_co_u32_e32 v11, vcc, 0, v5, vcc
	v_add_co_u32_e32 v8, vcc, s20, v10
	v_addc_co_u32_e32 v9, vcc, v11, v9, vcc
	v_cmp_eq_u64_e32 vcc, 0, v[8:9]
	v_cndmask_b32_e32 v9, v9, v11, vcc
	v_cndmask_b32_e32 v8, v8, v10, vcc
	v_and_b32_e32 v5, v9, v5
	v_and_b32_e32 v4, v8, v4
	v_mul_lo_u32 v5, v5, 24
	v_mul_hi_u32 v11, v4, 24
	v_mul_lo_u32 v4, v4, 24
	s_waitcnt vmcnt(1)
	v_mov_b32_e32 v10, v12
	v_add_u32_e32 v5, v11, v5
	s_waitcnt vmcnt(0)
	v_add_co_u32_e32 v4, vcc, v14, v4
	v_addc_co_u32_e32 v5, vcc, v15, v5, vcc
	global_store_dwordx2 v[4:5], v[12:13], off
	v_mov_b32_e32 v11, v13
	s_waitcnt vmcnt(0)
	global_atomic_cmpswap_x2 v[10:11], v28, v[8:11], s[36:37] offset:24 glc
	s_waitcnt vmcnt(0)
	v_cmp_ne_u64_e32 vcc, v[10:11], v[12:13]
	s_and_b64 exec, exec, vcc
	s_cbranch_execz .LBB4_302
; %bb.382:                              ;   in Loop: Header=BB4_303 Depth=1
	s_mov_b64 s[4:5], 0
.LBB4_383:                              ;   Parent Loop BB4_303 Depth=1
                                        ; =>  This Inner Loop Header: Depth=2
	s_sleep 1
	global_store_dwordx2 v[4:5], v[10:11], off
	s_waitcnt vmcnt(0)
	global_atomic_cmpswap_x2 v[12:13], v28, v[8:11], s[36:37] offset:24 glc
	s_waitcnt vmcnt(0)
	v_cmp_eq_u64_e32 vcc, v[12:13], v[10:11]
	v_mov_b32_e32 v10, v12
	s_or_b64 s[4:5], vcc, s[4:5]
	v_mov_b32_e32 v11, v13
	s_andn2_b64 exec, exec, s[4:5]
	s_cbranch_execnz .LBB4_383
	s_branch .LBB4_302
.LBB4_384:
	s_branch .LBB4_412
.LBB4_385:
                                        ; implicit-def: $vgpr2_vgpr3
	s_cbranch_execz .LBB4_412
; %bb.386:
	v_readfirstlane_b32 s4, v50
	v_mov_b32_e32 v8, 0
	v_mov_b32_e32 v9, 0
	v_cmp_eq_u32_e64 s[4:5], s4, v50
	s_and_saveexec_b64 s[10:11], s[4:5]
	s_cbranch_execz .LBB4_392
; %bb.387:
	s_waitcnt vmcnt(0)
	v_mov_b32_e32 v2, 0
	global_load_dwordx2 v[5:6], v2, s[36:37] offset:24 glc
	s_waitcnt vmcnt(0)
	buffer_wbinvl1_vol
	global_load_dwordx2 v[3:4], v2, s[36:37] offset:40
	global_load_dwordx2 v[7:8], v2, s[36:37]
	s_waitcnt vmcnt(1)
	v_and_b32_e32 v3, v3, v5
	v_and_b32_e32 v4, v4, v6
	v_mul_lo_u32 v4, v4, 24
	v_mul_hi_u32 v9, v3, 24
	v_mul_lo_u32 v3, v3, 24
	v_add_u32_e32 v4, v9, v4
	s_waitcnt vmcnt(0)
	v_add_co_u32_e32 v3, vcc, v7, v3
	v_addc_co_u32_e32 v4, vcc, v8, v4, vcc
	global_load_dwordx2 v[3:4], v[3:4], off glc
	s_waitcnt vmcnt(0)
	global_atomic_cmpswap_x2 v[8:9], v2, v[3:6], s[36:37] offset:24 glc
	s_waitcnt vmcnt(0)
	buffer_wbinvl1_vol
	v_cmp_ne_u64_e32 vcc, v[8:9], v[5:6]
	s_and_saveexec_b64 s[16:17], vcc
	s_cbranch_execz .LBB4_391
; %bb.388:
	s_mov_b64 s[18:19], 0
.LBB4_389:                              ; =>This Inner Loop Header: Depth=1
	s_sleep 1
	global_load_dwordx2 v[3:4], v2, s[36:37] offset:40
	global_load_dwordx2 v[10:11], v2, s[36:37]
	v_mov_b32_e32 v5, v8
	v_mov_b32_e32 v6, v9
	s_waitcnt vmcnt(1)
	v_and_b32_e32 v3, v3, v5
	s_waitcnt vmcnt(0)
	v_mad_u64_u32 v[7:8], s[20:21], v3, 24, v[10:11]
	v_and_b32_e32 v4, v4, v6
	v_mov_b32_e32 v3, v8
	v_mad_u64_u32 v[3:4], s[20:21], v4, 24, v[3:4]
	v_mov_b32_e32 v8, v3
	global_load_dwordx2 v[3:4], v[7:8], off glc
	s_waitcnt vmcnt(0)
	global_atomic_cmpswap_x2 v[8:9], v2, v[3:6], s[36:37] offset:24 glc
	s_waitcnt vmcnt(0)
	buffer_wbinvl1_vol
	v_cmp_eq_u64_e32 vcc, v[8:9], v[5:6]
	s_or_b64 s[18:19], vcc, s[18:19]
	s_andn2_b64 exec, exec, s[18:19]
	s_cbranch_execnz .LBB4_389
; %bb.390:
	s_or_b64 exec, exec, s[18:19]
.LBB4_391:
	s_or_b64 exec, exec, s[16:17]
.LBB4_392:
	s_or_b64 exec, exec, s[10:11]
	s_waitcnt vmcnt(0)
	v_mov_b32_e32 v2, 0
	global_load_dwordx2 v[10:11], v2, s[36:37] offset:40
	global_load_dwordx4 v[4:7], v2, s[36:37]
	v_readfirstlane_b32 s10, v8
	v_readfirstlane_b32 s11, v9
	s_mov_b64 s[16:17], exec
	s_waitcnt vmcnt(1)
	v_readfirstlane_b32 s18, v10
	v_readfirstlane_b32 s19, v11
	s_and_b64 s[18:19], s[10:11], s[18:19]
	s_mul_i32 s15, s19, 24
	s_mul_hi_u32 s20, s18, 24
	s_mul_i32 s21, s18, 24
	s_add_i32 s15, s20, s15
	v_mov_b32_e32 v3, s15
	s_waitcnt vmcnt(0)
	v_add_co_u32_e32 v8, vcc, s21, v4
	v_addc_co_u32_e32 v9, vcc, v5, v3, vcc
	s_and_saveexec_b64 s[20:21], s[4:5]
	s_cbranch_execz .LBB4_394
; %bb.393:
	v_mov_b32_e32 v10, s16
	v_mov_b32_e32 v11, s17
	v_mov_b32_e32 v12, 2
	v_mov_b32_e32 v13, 1
	global_store_dwordx4 v[8:9], v[10:13], off offset:8
.LBB4_394:
	s_or_b64 exec, exec, s[20:21]
	s_lshl_b64 s[16:17], s[18:19], 12
	v_mov_b32_e32 v3, s17
	v_add_co_u32_e32 v10, vcc, s16, v6
	v_addc_co_u32_e32 v11, vcc, v7, v3, vcc
	s_movk_i32 s15, 0xff1f
	v_and_or_b32 v0, v0, s15, 32
	s_mov_b32 s16, 0
	v_mov_b32_e32 v3, v2
	v_readfirstlane_b32 s20, v10
	v_readfirstlane_b32 s21, v11
	v_add_co_u32_e32 v6, vcc, v10, v39
	s_mov_b32 s17, s16
	s_mov_b32 s18, s16
	;; [unrolled: 1-line block ×3, first 2 shown]
	s_nop 0
	global_store_dwordx4 v39, v[0:3], s[20:21]
	v_addc_co_u32_e32 v7, vcc, 0, v11, vcc
	v_mov_b32_e32 v0, s16
	v_mov_b32_e32 v1, s17
	;; [unrolled: 1-line block ×4, first 2 shown]
	global_store_dwordx4 v39, v[0:3], s[20:21] offset:16
	global_store_dwordx4 v39, v[0:3], s[20:21] offset:32
	;; [unrolled: 1-line block ×3, first 2 shown]
	s_and_saveexec_b64 s[16:17], s[4:5]
	s_cbranch_execz .LBB4_402
; %bb.395:
	v_mov_b32_e32 v10, 0
	global_load_dwordx2 v[13:14], v10, s[36:37] offset:32 glc
	global_load_dwordx2 v[0:1], v10, s[36:37] offset:40
	v_mov_b32_e32 v11, s10
	v_mov_b32_e32 v12, s11
	s_waitcnt vmcnt(0)
	v_readfirstlane_b32 s18, v0
	v_readfirstlane_b32 s19, v1
	s_and_b64 s[18:19], s[18:19], s[10:11]
	s_mul_i32 s15, s19, 24
	s_mul_hi_u32 s19, s18, 24
	s_mul_i32 s18, s18, 24
	s_add_i32 s15, s19, s15
	v_mov_b32_e32 v0, s15
	v_add_co_u32_e32 v4, vcc, s18, v4
	v_addc_co_u32_e32 v5, vcc, v5, v0, vcc
	global_store_dwordx2 v[4:5], v[13:14], off
	s_waitcnt vmcnt(0)
	global_atomic_cmpswap_x2 v[2:3], v10, v[11:14], s[36:37] offset:32 glc
	s_waitcnt vmcnt(0)
	v_cmp_ne_u64_e32 vcc, v[2:3], v[13:14]
	s_and_saveexec_b64 s[18:19], vcc
	s_cbranch_execz .LBB4_398
; %bb.396:
	s_mov_b64 s[20:21], 0
.LBB4_397:                              ; =>This Inner Loop Header: Depth=1
	s_sleep 1
	global_store_dwordx2 v[4:5], v[2:3], off
	v_mov_b32_e32 v0, s10
	v_mov_b32_e32 v1, s11
	s_waitcnt vmcnt(0)
	global_atomic_cmpswap_x2 v[0:1], v10, v[0:3], s[36:37] offset:32 glc
	s_waitcnt vmcnt(0)
	v_cmp_eq_u64_e32 vcc, v[0:1], v[2:3]
	v_mov_b32_e32 v3, v1
	s_or_b64 s[20:21], vcc, s[20:21]
	v_mov_b32_e32 v2, v0
	s_andn2_b64 exec, exec, s[20:21]
	s_cbranch_execnz .LBB4_397
.LBB4_398:
	s_or_b64 exec, exec, s[18:19]
	v_mov_b32_e32 v3, 0
	global_load_dwordx2 v[0:1], v3, s[36:37] offset:16
	s_mov_b64 s[18:19], exec
	v_mbcnt_lo_u32_b32 v2, s18, 0
	v_mbcnt_hi_u32_b32 v2, s19, v2
	v_cmp_eq_u32_e32 vcc, 0, v2
	s_and_saveexec_b64 s[20:21], vcc
	s_cbranch_execz .LBB4_400
; %bb.399:
	s_bcnt1_i32_b64 s15, s[18:19]
	v_mov_b32_e32 v2, s15
	s_waitcnt vmcnt(0)
	global_atomic_add_x2 v[0:1], v[2:3], off offset:8
.LBB4_400:
	s_or_b64 exec, exec, s[20:21]
	s_waitcnt vmcnt(0)
	global_load_dwordx2 v[2:3], v[0:1], off offset:16
	s_waitcnt vmcnt(0)
	v_cmp_eq_u64_e32 vcc, 0, v[2:3]
	s_cbranch_vccnz .LBB4_402
; %bb.401:
	global_load_dword v0, v[0:1], off offset:24
	v_mov_b32_e32 v1, 0
	s_waitcnt vmcnt(0)
	global_store_dwordx2 v[2:3], v[0:1], off
	v_and_b32_e32 v0, 0xffffff, v0
	v_readfirstlane_b32 m0, v0
	s_sendmsg sendmsg(MSG_INTERRUPT)
.LBB4_402:
	s_or_b64 exec, exec, s[16:17]
	s_branch .LBB4_406
.LBB4_403:                              ;   in Loop: Header=BB4_406 Depth=1
	s_or_b64 exec, exec, s[16:17]
	v_readfirstlane_b32 s15, v0
	s_cmp_eq_u32 s15, 0
	s_cbranch_scc1 .LBB4_405
; %bb.404:                              ;   in Loop: Header=BB4_406 Depth=1
	s_sleep 1
	s_cbranch_execnz .LBB4_406
	s_branch .LBB4_408
.LBB4_405:
	s_branch .LBB4_408
.LBB4_406:                              ; =>This Inner Loop Header: Depth=1
	v_mov_b32_e32 v0, 1
	s_and_saveexec_b64 s[16:17], s[4:5]
	s_cbranch_execz .LBB4_403
; %bb.407:                              ;   in Loop: Header=BB4_406 Depth=1
	global_load_dword v0, v[8:9], off offset:20 glc
	s_waitcnt vmcnt(0)
	buffer_wbinvl1_vol
	v_and_b32_e32 v0, 1, v0
	s_branch .LBB4_403
.LBB4_408:
	global_load_dwordx2 v[2:3], v[6:7], off
	s_and_saveexec_b64 s[16:17], s[4:5]
	s_cbranch_execz .LBB4_411
; %bb.409:
	v_mov_b32_e32 v8, 0
	global_load_dwordx2 v[0:1], v8, s[36:37] offset:40
	global_load_dwordx2 v[9:10], v8, s[36:37] offset:24 glc
	global_load_dwordx2 v[11:12], v8, s[36:37]
	v_mov_b32_e32 v5, s11
	s_mov_b64 s[4:5], 0
	s_waitcnt vmcnt(2)
	v_add_co_u32_e32 v6, vcc, 1, v0
	v_addc_co_u32_e32 v7, vcc, 0, v1, vcc
	v_add_co_u32_e32 v4, vcc, s10, v6
	v_addc_co_u32_e32 v5, vcc, v7, v5, vcc
	v_cmp_eq_u64_e32 vcc, 0, v[4:5]
	v_cndmask_b32_e32 v5, v5, v7, vcc
	v_cndmask_b32_e32 v4, v4, v6, vcc
	v_and_b32_e32 v1, v5, v1
	v_and_b32_e32 v0, v4, v0
	v_mul_lo_u32 v1, v1, 24
	v_mul_hi_u32 v7, v0, 24
	v_mul_lo_u32 v0, v0, 24
	s_waitcnt vmcnt(1)
	v_mov_b32_e32 v6, v9
	v_add_u32_e32 v1, v7, v1
	s_waitcnt vmcnt(0)
	v_add_co_u32_e32 v0, vcc, v11, v0
	v_addc_co_u32_e32 v1, vcc, v12, v1, vcc
	global_store_dwordx2 v[0:1], v[9:10], off
	v_mov_b32_e32 v7, v10
	s_waitcnt vmcnt(0)
	global_atomic_cmpswap_x2 v[6:7], v8, v[4:7], s[36:37] offset:24 glc
	s_waitcnt vmcnt(0)
	v_cmp_ne_u64_e32 vcc, v[6:7], v[9:10]
	s_and_b64 exec, exec, vcc
	s_cbranch_execz .LBB4_411
.LBB4_410:                              ; =>This Inner Loop Header: Depth=1
	s_sleep 1
	global_store_dwordx2 v[0:1], v[6:7], off
	s_waitcnt vmcnt(0)
	global_atomic_cmpswap_x2 v[9:10], v8, v[4:7], s[36:37] offset:24 glc
	s_waitcnt vmcnt(0)
	v_cmp_eq_u64_e32 vcc, v[9:10], v[6:7]
	v_mov_b32_e32 v6, v9
	s_or_b64 s[4:5], vcc, s[4:5]
	v_mov_b32_e32 v7, v10
	s_andn2_b64 exec, exec, s[4:5]
	s_cbranch_execnz .LBB4_410
.LBB4_411:
	s_or_b64 exec, exec, s[16:17]
.LBB4_412:
	v_readfirstlane_b32 s4, v50
	s_waitcnt vmcnt(0)
	v_mov_b32_e32 v0, 0
	v_mov_b32_e32 v1, 0
	v_cmp_eq_u32_e64 s[4:5], s4, v50
	s_and_saveexec_b64 s[10:11], s[4:5]
	s_cbranch_execz .LBB4_418
; %bb.413:
	v_mov_b32_e32 v4, 0
	global_load_dwordx2 v[7:8], v4, s[36:37] offset:24 glc
	s_waitcnt vmcnt(0)
	buffer_wbinvl1_vol
	global_load_dwordx2 v[0:1], v4, s[36:37] offset:40
	global_load_dwordx2 v[5:6], v4, s[36:37]
	s_waitcnt vmcnt(1)
	v_and_b32_e32 v0, v0, v7
	v_and_b32_e32 v1, v1, v8
	v_mul_lo_u32 v1, v1, 24
	v_mul_hi_u32 v9, v0, 24
	v_mul_lo_u32 v0, v0, 24
	v_add_u32_e32 v1, v9, v1
	s_waitcnt vmcnt(0)
	v_add_co_u32_e32 v0, vcc, v5, v0
	v_addc_co_u32_e32 v1, vcc, v6, v1, vcc
	global_load_dwordx2 v[5:6], v[0:1], off glc
	s_waitcnt vmcnt(0)
	global_atomic_cmpswap_x2 v[0:1], v4, v[5:8], s[36:37] offset:24 glc
	s_waitcnt vmcnt(0)
	buffer_wbinvl1_vol
	v_cmp_ne_u64_e32 vcc, v[0:1], v[7:8]
	s_and_saveexec_b64 s[16:17], vcc
	s_cbranch_execz .LBB4_417
; %bb.414:
	s_mov_b64 s[18:19], 0
.LBB4_415:                              ; =>This Inner Loop Header: Depth=1
	s_sleep 1
	global_load_dwordx2 v[5:6], v4, s[36:37] offset:40
	global_load_dwordx2 v[9:10], v4, s[36:37]
	v_mov_b32_e32 v8, v1
	v_mov_b32_e32 v7, v0
	s_waitcnt vmcnt(1)
	v_and_b32_e32 v0, v5, v7
	s_waitcnt vmcnt(0)
	v_mad_u64_u32 v[0:1], s[20:21], v0, 24, v[9:10]
	v_and_b32_e32 v5, v6, v8
	v_mad_u64_u32 v[5:6], s[20:21], v5, 24, v[1:2]
	v_mov_b32_e32 v1, v5
	global_load_dwordx2 v[5:6], v[0:1], off glc
	s_waitcnt vmcnt(0)
	global_atomic_cmpswap_x2 v[0:1], v4, v[5:8], s[36:37] offset:24 glc
	s_waitcnt vmcnt(0)
	buffer_wbinvl1_vol
	v_cmp_eq_u64_e32 vcc, v[0:1], v[7:8]
	s_or_b64 s[18:19], vcc, s[18:19]
	s_andn2_b64 exec, exec, s[18:19]
	s_cbranch_execnz .LBB4_415
; %bb.416:
	s_or_b64 exec, exec, s[18:19]
.LBB4_417:
	s_or_b64 exec, exec, s[16:17]
.LBB4_418:
	s_or_b64 exec, exec, s[10:11]
	v_mov_b32_e32 v5, 0
	global_load_dwordx2 v[10:11], v5, s[36:37] offset:40
	global_load_dwordx4 v[6:9], v5, s[36:37]
	v_readfirstlane_b32 s10, v0
	v_readfirstlane_b32 s11, v1
	s_mov_b64 s[16:17], exec
	s_waitcnt vmcnt(1)
	v_readfirstlane_b32 s18, v10
	v_readfirstlane_b32 s19, v11
	s_and_b64 s[18:19], s[10:11], s[18:19]
	s_mul_i32 s15, s19, 24
	s_mul_hi_u32 s20, s18, 24
	s_mul_i32 s21, s18, 24
	s_add_i32 s15, s20, s15
	v_mov_b32_e32 v0, s15
	s_waitcnt vmcnt(0)
	v_add_co_u32_e32 v10, vcc, s21, v6
	v_addc_co_u32_e32 v11, vcc, v7, v0, vcc
	s_and_saveexec_b64 s[20:21], s[4:5]
	s_cbranch_execz .LBB4_420
; %bb.419:
	v_mov_b32_e32 v12, s16
	v_mov_b32_e32 v13, s17
	;; [unrolled: 1-line block ×4, first 2 shown]
	global_store_dwordx4 v[10:11], v[12:15], off offset:8
.LBB4_420:
	s_or_b64 exec, exec, s[20:21]
	s_lshl_b64 s[16:17], s[18:19], 12
	v_mov_b32_e32 v0, s17
	v_add_co_u32_e32 v1, vcc, s16, v8
	v_addc_co_u32_e32 v0, vcc, v9, v0, vcc
	s_movk_i32 s15, 0xff1d
	v_and_or_b32 v2, v2, s15, 34
	s_mov_b32 s16, 0
	v_mov_b32_e32 v4, 10
	v_readfirstlane_b32 s20, v1
	v_readfirstlane_b32 s21, v0
	s_mov_b32 s17, s16
	s_mov_b32 s18, s16
	;; [unrolled: 1-line block ×3, first 2 shown]
	s_nop 1
	global_store_dwordx4 v39, v[2:5], s[20:21]
	v_mov_b32_e32 v0, s16
	v_mov_b32_e32 v1, s17
	;; [unrolled: 1-line block ×4, first 2 shown]
	global_store_dwordx4 v39, v[0:3], s[20:21] offset:16
	global_store_dwordx4 v39, v[0:3], s[20:21] offset:32
	global_store_dwordx4 v39, v[0:3], s[20:21] offset:48
	s_and_saveexec_b64 s[16:17], s[4:5]
	s_cbranch_execz .LBB4_428
; %bb.421:
	v_mov_b32_e32 v8, 0
	global_load_dwordx2 v[14:15], v8, s[36:37] offset:32 glc
	global_load_dwordx2 v[0:1], v8, s[36:37] offset:40
	v_mov_b32_e32 v12, s10
	v_mov_b32_e32 v13, s11
	s_waitcnt vmcnt(0)
	v_readfirstlane_b32 s18, v0
	v_readfirstlane_b32 s19, v1
	s_and_b64 s[18:19], s[18:19], s[10:11]
	s_mul_i32 s15, s19, 24
	s_mul_hi_u32 s19, s18, 24
	s_mul_i32 s18, s18, 24
	s_add_i32 s15, s19, s15
	v_mov_b32_e32 v0, s15
	v_add_co_u32_e32 v4, vcc, s18, v6
	v_addc_co_u32_e32 v5, vcc, v7, v0, vcc
	global_store_dwordx2 v[4:5], v[14:15], off
	s_waitcnt vmcnt(0)
	global_atomic_cmpswap_x2 v[2:3], v8, v[12:15], s[36:37] offset:32 glc
	s_waitcnt vmcnt(0)
	v_cmp_ne_u64_e32 vcc, v[2:3], v[14:15]
	s_and_saveexec_b64 s[18:19], vcc
	s_cbranch_execz .LBB4_424
; %bb.422:
	s_mov_b64 s[20:21], 0
.LBB4_423:                              ; =>This Inner Loop Header: Depth=1
	s_sleep 1
	global_store_dwordx2 v[4:5], v[2:3], off
	v_mov_b32_e32 v0, s10
	v_mov_b32_e32 v1, s11
	s_waitcnt vmcnt(0)
	global_atomic_cmpswap_x2 v[0:1], v8, v[0:3], s[36:37] offset:32 glc
	s_waitcnt vmcnt(0)
	v_cmp_eq_u64_e32 vcc, v[0:1], v[2:3]
	v_mov_b32_e32 v3, v1
	s_or_b64 s[20:21], vcc, s[20:21]
	v_mov_b32_e32 v2, v0
	s_andn2_b64 exec, exec, s[20:21]
	s_cbranch_execnz .LBB4_423
.LBB4_424:
	s_or_b64 exec, exec, s[18:19]
	v_mov_b32_e32 v3, 0
	global_load_dwordx2 v[0:1], v3, s[36:37] offset:16
	s_mov_b64 s[18:19], exec
	v_mbcnt_lo_u32_b32 v2, s18, 0
	v_mbcnt_hi_u32_b32 v2, s19, v2
	v_cmp_eq_u32_e32 vcc, 0, v2
	s_and_saveexec_b64 s[20:21], vcc
	s_cbranch_execz .LBB4_426
; %bb.425:
	s_bcnt1_i32_b64 s15, s[18:19]
	v_mov_b32_e32 v2, s15
	s_waitcnt vmcnt(0)
	global_atomic_add_x2 v[0:1], v[2:3], off offset:8
.LBB4_426:
	s_or_b64 exec, exec, s[20:21]
	s_waitcnt vmcnt(0)
	global_load_dwordx2 v[2:3], v[0:1], off offset:16
	s_waitcnt vmcnt(0)
	v_cmp_eq_u64_e32 vcc, 0, v[2:3]
	s_cbranch_vccnz .LBB4_428
; %bb.427:
	global_load_dword v0, v[0:1], off offset:24
	v_mov_b32_e32 v1, 0
	s_waitcnt vmcnt(0)
	global_store_dwordx2 v[2:3], v[0:1], off
	v_and_b32_e32 v0, 0xffffff, v0
	v_readfirstlane_b32 m0, v0
	s_sendmsg sendmsg(MSG_INTERRUPT)
.LBB4_428:
	s_or_b64 exec, exec, s[16:17]
	s_branch .LBB4_432
.LBB4_429:                              ;   in Loop: Header=BB4_432 Depth=1
	s_or_b64 exec, exec, s[16:17]
	v_readfirstlane_b32 s15, v0
	s_cmp_eq_u32 s15, 0
	s_cbranch_scc1 .LBB4_431
; %bb.430:                              ;   in Loop: Header=BB4_432 Depth=1
	s_sleep 1
	s_cbranch_execnz .LBB4_432
	s_branch .LBB4_434
.LBB4_431:
	s_branch .LBB4_434
.LBB4_432:                              ; =>This Inner Loop Header: Depth=1
	v_mov_b32_e32 v0, 1
	s_and_saveexec_b64 s[16:17], s[4:5]
	s_cbranch_execz .LBB4_429
; %bb.433:                              ;   in Loop: Header=BB4_432 Depth=1
	global_load_dword v0, v[10:11], off offset:20 glc
	s_waitcnt vmcnt(0)
	buffer_wbinvl1_vol
	v_and_b32_e32 v0, 1, v0
	s_branch .LBB4_429
.LBB4_434:
	s_and_saveexec_b64 s[16:17], s[4:5]
	s_cbranch_execz .LBB4_437
; %bb.435:
	v_mov_b32_e32 v6, 0
	global_load_dwordx2 v[2:3], v6, s[36:37] offset:40
	global_load_dwordx2 v[7:8], v6, s[36:37] offset:24 glc
	global_load_dwordx2 v[4:5], v6, s[36:37]
	v_mov_b32_e32 v1, s11
	s_mov_b64 s[4:5], 0
	s_waitcnt vmcnt(2)
	v_add_co_u32_e32 v9, vcc, 1, v2
	v_addc_co_u32_e32 v10, vcc, 0, v3, vcc
	v_add_co_u32_e32 v0, vcc, s10, v9
	v_addc_co_u32_e32 v1, vcc, v10, v1, vcc
	v_cmp_eq_u64_e32 vcc, 0, v[0:1]
	v_cndmask_b32_e32 v1, v1, v10, vcc
	v_cndmask_b32_e32 v0, v0, v9, vcc
	v_and_b32_e32 v3, v1, v3
	v_and_b32_e32 v2, v0, v2
	v_mul_lo_u32 v3, v3, 24
	v_mul_hi_u32 v9, v2, 24
	v_mul_lo_u32 v10, v2, 24
	s_waitcnt vmcnt(1)
	v_mov_b32_e32 v2, v7
	v_add_u32_e32 v3, v9, v3
	s_waitcnt vmcnt(0)
	v_add_co_u32_e32 v4, vcc, v4, v10
	v_addc_co_u32_e32 v5, vcc, v5, v3, vcc
	global_store_dwordx2 v[4:5], v[7:8], off
	v_mov_b32_e32 v3, v8
	s_waitcnt vmcnt(0)
	global_atomic_cmpswap_x2 v[2:3], v6, v[0:3], s[36:37] offset:24 glc
	s_waitcnt vmcnt(0)
	v_cmp_ne_u64_e32 vcc, v[2:3], v[7:8]
	s_and_b64 exec, exec, vcc
	s_cbranch_execz .LBB4_437
.LBB4_436:                              ; =>This Inner Loop Header: Depth=1
	s_sleep 1
	global_store_dwordx2 v[4:5], v[2:3], off
	s_waitcnt vmcnt(0)
	global_atomic_cmpswap_x2 v[7:8], v6, v[0:3], s[36:37] offset:24 glc
	s_waitcnt vmcnt(0)
	v_cmp_eq_u64_e32 vcc, v[7:8], v[2:3]
	v_mov_b32_e32 v2, v7
	s_or_b64 s[4:5], vcc, s[4:5]
	v_mov_b32_e32 v3, v8
	s_andn2_b64 exec, exec, s[4:5]
	s_cbranch_execnz .LBB4_436
.LBB4_437:
	s_or_b64 exec, exec, s[16:17]
	v_readfirstlane_b32 s4, v50
	v_mov_b32_e32 v5, 0
	v_mov_b32_e32 v6, 0
	v_cmp_eq_u32_e64 s[4:5], s4, v50
	s_and_saveexec_b64 s[10:11], s[4:5]
	s_cbranch_execz .LBB4_443
; %bb.438:
	v_mov_b32_e32 v0, 0
	global_load_dwordx2 v[3:4], v0, s[36:37] offset:24 glc
	s_waitcnt vmcnt(0)
	buffer_wbinvl1_vol
	global_load_dwordx2 v[1:2], v0, s[36:37] offset:40
	global_load_dwordx2 v[5:6], v0, s[36:37]
	s_waitcnt vmcnt(1)
	v_and_b32_e32 v1, v1, v3
	v_and_b32_e32 v2, v2, v4
	v_mul_lo_u32 v2, v2, 24
	v_mul_hi_u32 v7, v1, 24
	v_mul_lo_u32 v1, v1, 24
	v_add_u32_e32 v2, v7, v2
	s_waitcnt vmcnt(0)
	v_add_co_u32_e32 v1, vcc, v5, v1
	v_addc_co_u32_e32 v2, vcc, v6, v2, vcc
	global_load_dwordx2 v[1:2], v[1:2], off glc
	s_waitcnt vmcnt(0)
	global_atomic_cmpswap_x2 v[5:6], v0, v[1:4], s[36:37] offset:24 glc
	s_waitcnt vmcnt(0)
	buffer_wbinvl1_vol
	v_cmp_ne_u64_e32 vcc, v[5:6], v[3:4]
	s_and_saveexec_b64 s[16:17], vcc
	s_cbranch_execz .LBB4_442
; %bb.439:
	s_mov_b64 s[18:19], 0
.LBB4_440:                              ; =>This Inner Loop Header: Depth=1
	s_sleep 1
	global_load_dwordx2 v[1:2], v0, s[36:37] offset:40
	global_load_dwordx2 v[7:8], v0, s[36:37]
	v_mov_b32_e32 v3, v5
	v_mov_b32_e32 v4, v6
	s_waitcnt vmcnt(1)
	v_and_b32_e32 v1, v1, v3
	s_waitcnt vmcnt(0)
	v_mad_u64_u32 v[5:6], s[20:21], v1, 24, v[7:8]
	v_and_b32_e32 v2, v2, v4
	v_mov_b32_e32 v1, v6
	v_mad_u64_u32 v[1:2], s[20:21], v2, 24, v[1:2]
	v_mov_b32_e32 v6, v1
	global_load_dwordx2 v[1:2], v[5:6], off glc
	s_waitcnt vmcnt(0)
	global_atomic_cmpswap_x2 v[5:6], v0, v[1:4], s[36:37] offset:24 glc
	s_waitcnt vmcnt(0)
	buffer_wbinvl1_vol
	v_cmp_eq_u64_e32 vcc, v[5:6], v[3:4]
	s_or_b64 s[18:19], vcc, s[18:19]
	s_andn2_b64 exec, exec, s[18:19]
	s_cbranch_execnz .LBB4_440
; %bb.441:
	s_or_b64 exec, exec, s[18:19]
.LBB4_442:
	s_or_b64 exec, exec, s[16:17]
.LBB4_443:
	s_or_b64 exec, exec, s[10:11]
	v_mov_b32_e32 v4, 0
	global_load_dwordx2 v[7:8], v4, s[36:37] offset:40
	global_load_dwordx4 v[0:3], v4, s[36:37]
	v_readfirstlane_b32 s10, v5
	v_readfirstlane_b32 s11, v6
	s_mov_b64 s[16:17], exec
	s_waitcnt vmcnt(1)
	v_readfirstlane_b32 s18, v7
	v_readfirstlane_b32 s19, v8
	s_and_b64 s[18:19], s[10:11], s[18:19]
	s_mul_i32 s15, s19, 24
	s_mul_hi_u32 s20, s18, 24
	s_mul_i32 s21, s18, 24
	s_add_i32 s15, s20, s15
	v_mov_b32_e32 v5, s15
	s_waitcnt vmcnt(0)
	v_add_co_u32_e32 v7, vcc, s21, v0
	v_addc_co_u32_e32 v8, vcc, v1, v5, vcc
	s_and_saveexec_b64 s[20:21], s[4:5]
	s_cbranch_execz .LBB4_445
; %bb.444:
	v_mov_b32_e32 v9, s16
	v_mov_b32_e32 v10, s17
	;; [unrolled: 1-line block ×4, first 2 shown]
	global_store_dwordx4 v[7:8], v[9:12], off offset:8
.LBB4_445:
	s_or_b64 exec, exec, s[20:21]
	s_lshl_b64 s[16:17], s[18:19], 12
	v_mov_b32_e32 v5, s17
	v_add_co_u32_e32 v2, vcc, s16, v2
	v_addc_co_u32_e32 v11, vcc, v3, v5, vcc
	s_mov_b32 s16, 0
	v_mov_b32_e32 v3, 33
	v_mov_b32_e32 v5, v4
	;; [unrolled: 1-line block ×3, first 2 shown]
	v_readfirstlane_b32 s20, v2
	v_readfirstlane_b32 s21, v11
	v_add_co_u32_e32 v9, vcc, v2, v39
	s_mov_b32 s17, s16
	s_mov_b32 s18, s16
	;; [unrolled: 1-line block ×3, first 2 shown]
	s_nop 0
	global_store_dwordx4 v39, v[3:6], s[20:21]
	v_mov_b32_e32 v2, s16
	v_addc_co_u32_e32 v10, vcc, 0, v11, vcc
	v_mov_b32_e32 v3, s17
	v_mov_b32_e32 v4, s18
	;; [unrolled: 1-line block ×3, first 2 shown]
	global_store_dwordx4 v39, v[2:5], s[20:21] offset:16
	global_store_dwordx4 v39, v[2:5], s[20:21] offset:32
	;; [unrolled: 1-line block ×3, first 2 shown]
	s_and_saveexec_b64 s[16:17], s[4:5]
	s_cbranch_execz .LBB4_453
; %bb.446:
	v_mov_b32_e32 v6, 0
	global_load_dwordx2 v[13:14], v6, s[36:37] offset:32 glc
	global_load_dwordx2 v[2:3], v6, s[36:37] offset:40
	v_mov_b32_e32 v11, s10
	v_mov_b32_e32 v12, s11
	s_waitcnt vmcnt(0)
	v_readfirstlane_b32 s18, v2
	v_readfirstlane_b32 s19, v3
	s_and_b64 s[18:19], s[18:19], s[10:11]
	s_mul_i32 s15, s19, 24
	s_mul_hi_u32 s19, s18, 24
	s_mul_i32 s18, s18, 24
	s_add_i32 s15, s19, s15
	v_mov_b32_e32 v2, s15
	v_add_co_u32_e32 v4, vcc, s18, v0
	v_addc_co_u32_e32 v5, vcc, v1, v2, vcc
	global_store_dwordx2 v[4:5], v[13:14], off
	s_waitcnt vmcnt(0)
	global_atomic_cmpswap_x2 v[2:3], v6, v[11:14], s[36:37] offset:32 glc
	s_waitcnt vmcnt(0)
	v_cmp_ne_u64_e32 vcc, v[2:3], v[13:14]
	s_and_saveexec_b64 s[18:19], vcc
	s_cbranch_execz .LBB4_449
; %bb.447:
	s_mov_b64 s[20:21], 0
.LBB4_448:                              ; =>This Inner Loop Header: Depth=1
	s_sleep 1
	global_store_dwordx2 v[4:5], v[2:3], off
	v_mov_b32_e32 v0, s10
	v_mov_b32_e32 v1, s11
	s_waitcnt vmcnt(0)
	global_atomic_cmpswap_x2 v[0:1], v6, v[0:3], s[36:37] offset:32 glc
	s_waitcnt vmcnt(0)
	v_cmp_eq_u64_e32 vcc, v[0:1], v[2:3]
	v_mov_b32_e32 v3, v1
	s_or_b64 s[20:21], vcc, s[20:21]
	v_mov_b32_e32 v2, v0
	s_andn2_b64 exec, exec, s[20:21]
	s_cbranch_execnz .LBB4_448
.LBB4_449:
	s_or_b64 exec, exec, s[18:19]
	v_mov_b32_e32 v3, 0
	global_load_dwordx2 v[0:1], v3, s[36:37] offset:16
	s_mov_b64 s[18:19], exec
	v_mbcnt_lo_u32_b32 v2, s18, 0
	v_mbcnt_hi_u32_b32 v2, s19, v2
	v_cmp_eq_u32_e32 vcc, 0, v2
	s_and_saveexec_b64 s[20:21], vcc
	s_cbranch_execz .LBB4_451
; %bb.450:
	s_bcnt1_i32_b64 s15, s[18:19]
	v_mov_b32_e32 v2, s15
	s_waitcnt vmcnt(0)
	global_atomic_add_x2 v[0:1], v[2:3], off offset:8
.LBB4_451:
	s_or_b64 exec, exec, s[20:21]
	s_waitcnt vmcnt(0)
	global_load_dwordx2 v[2:3], v[0:1], off offset:16
	s_waitcnt vmcnt(0)
	v_cmp_eq_u64_e32 vcc, 0, v[2:3]
	s_cbranch_vccnz .LBB4_453
; %bb.452:
	global_load_dword v0, v[0:1], off offset:24
	v_mov_b32_e32 v1, 0
	s_waitcnt vmcnt(0)
	global_store_dwordx2 v[2:3], v[0:1], off
	v_and_b32_e32 v0, 0xffffff, v0
	v_readfirstlane_b32 m0, v0
	s_sendmsg sendmsg(MSG_INTERRUPT)
.LBB4_453:
	s_or_b64 exec, exec, s[16:17]
	s_branch .LBB4_457
.LBB4_454:                              ;   in Loop: Header=BB4_457 Depth=1
	s_or_b64 exec, exec, s[16:17]
	v_readfirstlane_b32 s15, v0
	s_cmp_eq_u32 s15, 0
	s_cbranch_scc1 .LBB4_456
; %bb.455:                              ;   in Loop: Header=BB4_457 Depth=1
	s_sleep 1
	s_cbranch_execnz .LBB4_457
	s_branch .LBB4_459
.LBB4_456:
	s_branch .LBB4_459
.LBB4_457:                              ; =>This Inner Loop Header: Depth=1
	v_mov_b32_e32 v0, 1
	s_and_saveexec_b64 s[16:17], s[4:5]
	s_cbranch_execz .LBB4_454
; %bb.458:                              ;   in Loop: Header=BB4_457 Depth=1
	global_load_dword v0, v[7:8], off offset:20 glc
	s_waitcnt vmcnt(0)
	buffer_wbinvl1_vol
	v_and_b32_e32 v0, 1, v0
	s_branch .LBB4_454
.LBB4_459:
	global_load_dwordx2 v[4:5], v[9:10], off
	s_and_saveexec_b64 s[16:17], s[4:5]
	s_cbranch_execz .LBB4_462
; %bb.460:
	v_mov_b32_e32 v8, 0
	global_load_dwordx2 v[2:3], v8, s[36:37] offset:40
	global_load_dwordx2 v[9:10], v8, s[36:37] offset:24 glc
	global_load_dwordx2 v[6:7], v8, s[36:37]
	v_mov_b32_e32 v1, s11
	s_mov_b64 s[4:5], 0
	s_waitcnt vmcnt(2)
	v_add_co_u32_e32 v11, vcc, 1, v2
	v_addc_co_u32_e32 v12, vcc, 0, v3, vcc
	v_add_co_u32_e32 v0, vcc, s10, v11
	v_addc_co_u32_e32 v1, vcc, v12, v1, vcc
	v_cmp_eq_u64_e32 vcc, 0, v[0:1]
	v_cndmask_b32_e32 v1, v1, v12, vcc
	v_cndmask_b32_e32 v0, v0, v11, vcc
	v_and_b32_e32 v3, v1, v3
	v_and_b32_e32 v2, v0, v2
	v_mul_lo_u32 v3, v3, 24
	v_mul_hi_u32 v11, v2, 24
	v_mul_lo_u32 v12, v2, 24
	s_waitcnt vmcnt(1)
	v_mov_b32_e32 v2, v9
	v_add_u32_e32 v3, v11, v3
	s_waitcnt vmcnt(0)
	v_add_co_u32_e32 v6, vcc, v6, v12
	v_addc_co_u32_e32 v7, vcc, v7, v3, vcc
	global_store_dwordx2 v[6:7], v[9:10], off
	v_mov_b32_e32 v3, v10
	s_waitcnt vmcnt(0)
	global_atomic_cmpswap_x2 v[2:3], v8, v[0:3], s[36:37] offset:24 glc
	s_waitcnt vmcnt(0)
	v_cmp_ne_u64_e32 vcc, v[2:3], v[9:10]
	s_and_b64 exec, exec, vcc
	s_cbranch_execz .LBB4_462
.LBB4_461:                              ; =>This Inner Loop Header: Depth=1
	s_sleep 1
	global_store_dwordx2 v[6:7], v[2:3], off
	s_waitcnt vmcnt(0)
	global_atomic_cmpswap_x2 v[9:10], v8, v[0:3], s[36:37] offset:24 glc
	s_waitcnt vmcnt(0)
	v_cmp_eq_u64_e32 vcc, v[9:10], v[2:3]
	v_mov_b32_e32 v2, v9
	s_or_b64 s[4:5], vcc, s[4:5]
	v_mov_b32_e32 v3, v10
	s_andn2_b64 exec, exec, s[4:5]
	s_cbranch_execnz .LBB4_461
.LBB4_462:
	s_or_b64 exec, exec, s[16:17]
	s_and_b64 vcc, exec, s[6:7]
	s_cbranch_vccz .LBB4_547
; %bb.463:
	s_waitcnt vmcnt(0)
	v_and_b32_e32 v29, 2, v4
	v_mov_b32_e32 v26, 0
	v_and_b32_e32 v0, -3, v4
	v_mov_b32_e32 v1, v5
	s_mov_b64 s[16:17], 3
	v_mov_b32_e32 v8, 2
	v_mov_b32_e32 v9, 1
	s_getpc_b64 s[10:11]
	s_add_u32 s10, s10, .str.5@rel32@lo+4
	s_addc_u32 s11, s11, .str.5@rel32@hi+12
	s_branch .LBB4_465
.LBB4_464:                              ;   in Loop: Header=BB4_465 Depth=1
	s_or_b64 exec, exec, s[22:23]
	s_sub_u32 s16, s16, s18
	s_subb_u32 s17, s17, s19
	s_add_u32 s10, s10, s18
	s_addc_u32 s11, s11, s19
	s_cmp_lg_u64 s[16:17], 0
	s_cbranch_scc0 .LBB4_546
.LBB4_465:                              ; =>This Loop Header: Depth=1
                                        ;     Child Loop BB4_468 Depth 2
                                        ;     Child Loop BB4_475 Depth 2
	;; [unrolled: 1-line block ×11, first 2 shown]
	v_cmp_lt_u64_e64 s[4:5], s[16:17], 56
	v_cmp_gt_u64_e64 s[20:21], s[16:17], 7
	s_and_b64 s[4:5], s[4:5], exec
	s_cselect_b32 s19, s17, 0
	s_cselect_b32 s18, s16, 56
	s_and_b64 vcc, exec, s[20:21]
	s_cbranch_vccnz .LBB4_470
; %bb.466:                              ;   in Loop: Header=BB4_465 Depth=1
	s_waitcnt vmcnt(0)
	v_mov_b32_e32 v2, 0
	s_cmp_eq_u64 s[16:17], 0
	v_mov_b32_e32 v3, 0
	s_mov_b64 s[4:5], 0
	s_cbranch_scc1 .LBB4_469
; %bb.467:                              ;   in Loop: Header=BB4_465 Depth=1
	v_mov_b32_e32 v2, 0
	s_lshl_b64 s[20:21], s[18:19], 3
	s_mov_b64 s[22:23], 0
	v_mov_b32_e32 v3, 0
	s_mov_b64 s[24:25], s[10:11]
.LBB4_468:                              ;   Parent Loop BB4_465 Depth=1
                                        ; =>  This Inner Loop Header: Depth=2
	global_load_ubyte v6, v26, s[24:25]
	s_waitcnt vmcnt(0)
	v_and_b32_e32 v25, 0xffff, v6
	v_lshlrev_b64 v[6:7], s22, v[25:26]
	s_add_u32 s22, s22, 8
	s_addc_u32 s23, s23, 0
	s_add_u32 s24, s24, 1
	s_addc_u32 s25, s25, 0
	v_or_b32_e32 v2, v6, v2
	s_cmp_lg_u32 s20, s22
	v_or_b32_e32 v3, v7, v3
	s_cbranch_scc1 .LBB4_468
.LBB4_469:                              ;   in Loop: Header=BB4_465 Depth=1
	s_mov_b32 s15, 0
	s_andn2_b64 vcc, exec, s[4:5]
	s_mov_b64 s[4:5], s[10:11]
	s_cbranch_vccz .LBB4_471
	s_branch .LBB4_472
.LBB4_470:                              ;   in Loop: Header=BB4_465 Depth=1
                                        ; implicit-def: $vgpr2_vgpr3
                                        ; implicit-def: $sgpr15
	s_mov_b64 s[4:5], s[10:11]
.LBB4_471:                              ;   in Loop: Header=BB4_465 Depth=1
	global_load_dwordx2 v[2:3], v26, s[10:11]
	s_add_i32 s15, s18, -8
	s_add_u32 s4, s10, 8
	s_addc_u32 s5, s11, 0
.LBB4_472:                              ;   in Loop: Header=BB4_465 Depth=1
	s_cmp_gt_u32 s15, 7
	s_cbranch_scc1 .LBB4_476
; %bb.473:                              ;   in Loop: Header=BB4_465 Depth=1
	s_cmp_eq_u32 s15, 0
	s_cbranch_scc1 .LBB4_477
; %bb.474:                              ;   in Loop: Header=BB4_465 Depth=1
	v_mov_b32_e32 v10, 0
	s_mov_b64 s[20:21], 0
	v_mov_b32_e32 v11, 0
	s_mov_b64 s[22:23], 0
.LBB4_475:                              ;   Parent Loop BB4_465 Depth=1
                                        ; =>  This Inner Loop Header: Depth=2
	s_add_u32 s24, s4, s22
	s_addc_u32 s25, s5, s23
	global_load_ubyte v6, v26, s[24:25]
	s_add_u32 s22, s22, 1
	s_addc_u32 s23, s23, 0
	s_waitcnt vmcnt(0)
	v_and_b32_e32 v25, 0xffff, v6
	v_lshlrev_b64 v[6:7], s20, v[25:26]
	s_add_u32 s20, s20, 8
	s_addc_u32 s21, s21, 0
	v_or_b32_e32 v10, v6, v10
	s_cmp_lg_u32 s15, s22
	v_or_b32_e32 v11, v7, v11
	s_cbranch_scc1 .LBB4_475
	s_branch .LBB4_478
.LBB4_476:                              ;   in Loop: Header=BB4_465 Depth=1
                                        ; implicit-def: $vgpr10_vgpr11
                                        ; implicit-def: $sgpr24
	s_branch .LBB4_479
.LBB4_477:                              ;   in Loop: Header=BB4_465 Depth=1
	v_mov_b32_e32 v10, 0
	v_mov_b32_e32 v11, 0
.LBB4_478:                              ;   in Loop: Header=BB4_465 Depth=1
	s_mov_b32 s24, 0
	s_cbranch_execnz .LBB4_480
.LBB4_479:                              ;   in Loop: Header=BB4_465 Depth=1
	global_load_dwordx2 v[10:11], v26, s[4:5]
	s_add_i32 s24, s15, -8
	s_add_u32 s4, s4, 8
	s_addc_u32 s5, s5, 0
.LBB4_480:                              ;   in Loop: Header=BB4_465 Depth=1
	s_cmp_gt_u32 s24, 7
	s_cbranch_scc1 .LBB4_484
; %bb.481:                              ;   in Loop: Header=BB4_465 Depth=1
	s_cmp_eq_u32 s24, 0
	s_cbranch_scc1 .LBB4_485
; %bb.482:                              ;   in Loop: Header=BB4_465 Depth=1
	v_mov_b32_e32 v12, 0
	s_mov_b64 s[20:21], 0
	v_mov_b32_e32 v13, 0
	s_mov_b64 s[22:23], 0
.LBB4_483:                              ;   Parent Loop BB4_465 Depth=1
                                        ; =>  This Inner Loop Header: Depth=2
	s_add_u32 s26, s4, s22
	s_addc_u32 s27, s5, s23
	global_load_ubyte v6, v26, s[26:27]
	s_add_u32 s22, s22, 1
	s_addc_u32 s23, s23, 0
	s_waitcnt vmcnt(0)
	v_and_b32_e32 v25, 0xffff, v6
	v_lshlrev_b64 v[6:7], s20, v[25:26]
	s_add_u32 s20, s20, 8
	s_addc_u32 s21, s21, 0
	v_or_b32_e32 v12, v6, v12
	s_cmp_lg_u32 s24, s22
	v_or_b32_e32 v13, v7, v13
	s_cbranch_scc1 .LBB4_483
	s_branch .LBB4_486
.LBB4_484:                              ;   in Loop: Header=BB4_465 Depth=1
                                        ; implicit-def: $sgpr15
	s_branch .LBB4_487
.LBB4_485:                              ;   in Loop: Header=BB4_465 Depth=1
	v_mov_b32_e32 v12, 0
	v_mov_b32_e32 v13, 0
.LBB4_486:                              ;   in Loop: Header=BB4_465 Depth=1
	s_mov_b32 s15, 0
	s_cbranch_execnz .LBB4_488
.LBB4_487:                              ;   in Loop: Header=BB4_465 Depth=1
	global_load_dwordx2 v[12:13], v26, s[4:5]
	s_add_i32 s15, s24, -8
	s_add_u32 s4, s4, 8
	s_addc_u32 s5, s5, 0
.LBB4_488:                              ;   in Loop: Header=BB4_465 Depth=1
	s_cmp_gt_u32 s15, 7
	s_cbranch_scc1 .LBB4_492
; %bb.489:                              ;   in Loop: Header=BB4_465 Depth=1
	s_cmp_eq_u32 s15, 0
	s_cbranch_scc1 .LBB4_493
; %bb.490:                              ;   in Loop: Header=BB4_465 Depth=1
	v_mov_b32_e32 v14, 0
	s_mov_b64 s[20:21], 0
	v_mov_b32_e32 v15, 0
	s_mov_b64 s[22:23], 0
.LBB4_491:                              ;   Parent Loop BB4_465 Depth=1
                                        ; =>  This Inner Loop Header: Depth=2
	s_add_u32 s24, s4, s22
	s_addc_u32 s25, s5, s23
	global_load_ubyte v6, v26, s[24:25]
	s_add_u32 s22, s22, 1
	s_addc_u32 s23, s23, 0
	s_waitcnt vmcnt(0)
	v_and_b32_e32 v25, 0xffff, v6
	v_lshlrev_b64 v[6:7], s20, v[25:26]
	s_add_u32 s20, s20, 8
	s_addc_u32 s21, s21, 0
	v_or_b32_e32 v14, v6, v14
	s_cmp_lg_u32 s15, s22
	v_or_b32_e32 v15, v7, v15
	s_cbranch_scc1 .LBB4_491
	s_branch .LBB4_494
.LBB4_492:                              ;   in Loop: Header=BB4_465 Depth=1
                                        ; implicit-def: $vgpr14_vgpr15
                                        ; implicit-def: $sgpr24
	s_branch .LBB4_495
.LBB4_493:                              ;   in Loop: Header=BB4_465 Depth=1
	v_mov_b32_e32 v14, 0
	v_mov_b32_e32 v15, 0
.LBB4_494:                              ;   in Loop: Header=BB4_465 Depth=1
	s_mov_b32 s24, 0
	s_cbranch_execnz .LBB4_496
.LBB4_495:                              ;   in Loop: Header=BB4_465 Depth=1
	global_load_dwordx2 v[14:15], v26, s[4:5]
	s_add_i32 s24, s15, -8
	s_add_u32 s4, s4, 8
	s_addc_u32 s5, s5, 0
.LBB4_496:                              ;   in Loop: Header=BB4_465 Depth=1
	s_cmp_gt_u32 s24, 7
	s_cbranch_scc1 .LBB4_500
; %bb.497:                              ;   in Loop: Header=BB4_465 Depth=1
	s_cmp_eq_u32 s24, 0
	s_cbranch_scc1 .LBB4_501
; %bb.498:                              ;   in Loop: Header=BB4_465 Depth=1
	v_mov_b32_e32 v16, 0
	s_mov_b64 s[20:21], 0
	v_mov_b32_e32 v17, 0
	s_mov_b64 s[22:23], 0
.LBB4_499:                              ;   Parent Loop BB4_465 Depth=1
                                        ; =>  This Inner Loop Header: Depth=2
	s_add_u32 s26, s4, s22
	s_addc_u32 s27, s5, s23
	global_load_ubyte v6, v26, s[26:27]
	s_add_u32 s22, s22, 1
	s_addc_u32 s23, s23, 0
	s_waitcnt vmcnt(0)
	v_and_b32_e32 v25, 0xffff, v6
	v_lshlrev_b64 v[6:7], s20, v[25:26]
	s_add_u32 s20, s20, 8
	s_addc_u32 s21, s21, 0
	v_or_b32_e32 v16, v6, v16
	s_cmp_lg_u32 s24, s22
	v_or_b32_e32 v17, v7, v17
	s_cbranch_scc1 .LBB4_499
	s_branch .LBB4_502
.LBB4_500:                              ;   in Loop: Header=BB4_465 Depth=1
                                        ; implicit-def: $sgpr15
	s_branch .LBB4_503
.LBB4_501:                              ;   in Loop: Header=BB4_465 Depth=1
	v_mov_b32_e32 v16, 0
	v_mov_b32_e32 v17, 0
.LBB4_502:                              ;   in Loop: Header=BB4_465 Depth=1
	s_mov_b32 s15, 0
	s_cbranch_execnz .LBB4_504
.LBB4_503:                              ;   in Loop: Header=BB4_465 Depth=1
	global_load_dwordx2 v[16:17], v26, s[4:5]
	s_add_i32 s15, s24, -8
	s_add_u32 s4, s4, 8
	s_addc_u32 s5, s5, 0
.LBB4_504:                              ;   in Loop: Header=BB4_465 Depth=1
	s_cmp_gt_u32 s15, 7
	s_cbranch_scc1 .LBB4_508
; %bb.505:                              ;   in Loop: Header=BB4_465 Depth=1
	s_cmp_eq_u32 s15, 0
	s_cbranch_scc1 .LBB4_509
; %bb.506:                              ;   in Loop: Header=BB4_465 Depth=1
	v_mov_b32_e32 v18, 0
	s_mov_b64 s[20:21], 0
	v_mov_b32_e32 v19, 0
	s_mov_b64 s[22:23], 0
.LBB4_507:                              ;   Parent Loop BB4_465 Depth=1
                                        ; =>  This Inner Loop Header: Depth=2
	s_add_u32 s24, s4, s22
	s_addc_u32 s25, s5, s23
	global_load_ubyte v6, v26, s[24:25]
	s_add_u32 s22, s22, 1
	s_addc_u32 s23, s23, 0
	s_waitcnt vmcnt(0)
	v_and_b32_e32 v25, 0xffff, v6
	v_lshlrev_b64 v[6:7], s20, v[25:26]
	s_add_u32 s20, s20, 8
	s_addc_u32 s21, s21, 0
	v_or_b32_e32 v18, v6, v18
	s_cmp_lg_u32 s15, s22
	v_or_b32_e32 v19, v7, v19
	s_cbranch_scc1 .LBB4_507
	s_branch .LBB4_510
.LBB4_508:                              ;   in Loop: Header=BB4_465 Depth=1
                                        ; implicit-def: $vgpr18_vgpr19
                                        ; implicit-def: $sgpr24
	s_branch .LBB4_511
.LBB4_509:                              ;   in Loop: Header=BB4_465 Depth=1
	v_mov_b32_e32 v18, 0
	v_mov_b32_e32 v19, 0
.LBB4_510:                              ;   in Loop: Header=BB4_465 Depth=1
	s_mov_b32 s24, 0
	s_cbranch_execnz .LBB4_512
.LBB4_511:                              ;   in Loop: Header=BB4_465 Depth=1
	global_load_dwordx2 v[18:19], v26, s[4:5]
	s_add_i32 s24, s15, -8
	s_add_u32 s4, s4, 8
	s_addc_u32 s5, s5, 0
.LBB4_512:                              ;   in Loop: Header=BB4_465 Depth=1
	s_cmp_gt_u32 s24, 7
	s_cbranch_scc1 .LBB4_516
; %bb.513:                              ;   in Loop: Header=BB4_465 Depth=1
	s_cmp_eq_u32 s24, 0
	s_cbranch_scc1 .LBB4_517
; %bb.514:                              ;   in Loop: Header=BB4_465 Depth=1
	v_mov_b32_e32 v20, 0
	s_mov_b64 s[20:21], 0
	v_mov_b32_e32 v21, 0
	s_mov_b64 s[22:23], s[4:5]
.LBB4_515:                              ;   Parent Loop BB4_465 Depth=1
                                        ; =>  This Inner Loop Header: Depth=2
	global_load_ubyte v6, v26, s[22:23]
	s_add_i32 s24, s24, -1
	s_waitcnt vmcnt(0)
	v_and_b32_e32 v25, 0xffff, v6
	v_lshlrev_b64 v[6:7], s20, v[25:26]
	s_add_u32 s20, s20, 8
	s_addc_u32 s21, s21, 0
	s_add_u32 s22, s22, 1
	s_addc_u32 s23, s23, 0
	v_or_b32_e32 v20, v6, v20
	s_cmp_lg_u32 s24, 0
	v_or_b32_e32 v21, v7, v21
	s_cbranch_scc1 .LBB4_515
	s_branch .LBB4_518
.LBB4_516:                              ;   in Loop: Header=BB4_465 Depth=1
	s_branch .LBB4_519
.LBB4_517:                              ;   in Loop: Header=BB4_465 Depth=1
	v_mov_b32_e32 v20, 0
	v_mov_b32_e32 v21, 0
.LBB4_518:                              ;   in Loop: Header=BB4_465 Depth=1
	s_cbranch_execnz .LBB4_520
.LBB4_519:                              ;   in Loop: Header=BB4_465 Depth=1
	global_load_dwordx2 v[20:21], v26, s[4:5]
.LBB4_520:                              ;   in Loop: Header=BB4_465 Depth=1
	v_readfirstlane_b32 s4, v50
	v_mov_b32_e32 v6, 0
	v_mov_b32_e32 v7, 0
	v_cmp_eq_u32_e64 s[4:5], s4, v50
	s_and_saveexec_b64 s[20:21], s[4:5]
	s_cbranch_execz .LBB4_526
; %bb.521:                              ;   in Loop: Header=BB4_465 Depth=1
	global_load_dwordx2 v[24:25], v26, s[36:37] offset:24 glc
	s_waitcnt vmcnt(0)
	buffer_wbinvl1_vol
	global_load_dwordx2 v[6:7], v26, s[36:37] offset:40
	global_load_dwordx2 v[22:23], v26, s[36:37]
	s_waitcnt vmcnt(1)
	v_and_b32_e32 v6, v6, v24
	v_and_b32_e32 v7, v7, v25
	v_mul_lo_u32 v7, v7, 24
	v_mul_hi_u32 v27, v6, 24
	v_mul_lo_u32 v6, v6, 24
	v_add_u32_e32 v7, v27, v7
	s_waitcnt vmcnt(0)
	v_add_co_u32_e32 v6, vcc, v22, v6
	v_addc_co_u32_e32 v7, vcc, v23, v7, vcc
	global_load_dwordx2 v[22:23], v[6:7], off glc
	s_waitcnt vmcnt(0)
	global_atomic_cmpswap_x2 v[6:7], v26, v[22:25], s[36:37] offset:24 glc
	s_waitcnt vmcnt(0)
	buffer_wbinvl1_vol
	v_cmp_ne_u64_e32 vcc, v[6:7], v[24:25]
	s_and_saveexec_b64 s[22:23], vcc
	s_cbranch_execz .LBB4_525
; %bb.522:                              ;   in Loop: Header=BB4_465 Depth=1
	s_mov_b64 s[24:25], 0
.LBB4_523:                              ;   Parent Loop BB4_465 Depth=1
                                        ; =>  This Inner Loop Header: Depth=2
	s_sleep 1
	global_load_dwordx2 v[22:23], v26, s[36:37] offset:40
	global_load_dwordx2 v[27:28], v26, s[36:37]
	v_mov_b32_e32 v25, v7
	v_mov_b32_e32 v24, v6
	s_waitcnt vmcnt(1)
	v_and_b32_e32 v6, v22, v24
	s_waitcnt vmcnt(0)
	v_mad_u64_u32 v[6:7], s[26:27], v6, 24, v[27:28]
	v_and_b32_e32 v22, v23, v25
	v_mad_u64_u32 v[22:23], s[26:27], v22, 24, v[7:8]
	v_mov_b32_e32 v7, v22
	global_load_dwordx2 v[22:23], v[6:7], off glc
	s_waitcnt vmcnt(0)
	global_atomic_cmpswap_x2 v[6:7], v26, v[22:25], s[36:37] offset:24 glc
	s_waitcnt vmcnt(0)
	buffer_wbinvl1_vol
	v_cmp_eq_u64_e32 vcc, v[6:7], v[24:25]
	s_or_b64 s[24:25], vcc, s[24:25]
	s_andn2_b64 exec, exec, s[24:25]
	s_cbranch_execnz .LBB4_523
; %bb.524:                              ;   in Loop: Header=BB4_465 Depth=1
	s_or_b64 exec, exec, s[24:25]
.LBB4_525:                              ;   in Loop: Header=BB4_465 Depth=1
	s_or_b64 exec, exec, s[22:23]
.LBB4_526:                              ;   in Loop: Header=BB4_465 Depth=1
	s_or_b64 exec, exec, s[20:21]
	global_load_dwordx2 v[27:28], v26, s[36:37] offset:40
	global_load_dwordx4 v[22:25], v26, s[36:37]
	v_readfirstlane_b32 s20, v6
	v_readfirstlane_b32 s21, v7
	s_mov_b64 s[22:23], exec
	s_waitcnt vmcnt(1)
	v_readfirstlane_b32 s24, v27
	v_readfirstlane_b32 s25, v28
	s_and_b64 s[24:25], s[20:21], s[24:25]
	s_mul_i32 s15, s25, 24
	s_mul_hi_u32 s26, s24, 24
	s_mul_i32 s27, s24, 24
	s_add_i32 s15, s26, s15
	v_mov_b32_e32 v6, s15
	s_waitcnt vmcnt(0)
	v_add_co_u32_e32 v27, vcc, s27, v22
	v_addc_co_u32_e32 v28, vcc, v23, v6, vcc
	s_and_saveexec_b64 s[26:27], s[4:5]
	s_cbranch_execz .LBB4_528
; %bb.527:                              ;   in Loop: Header=BB4_465 Depth=1
	v_mov_b32_e32 v6, s22
	v_mov_b32_e32 v7, s23
	global_store_dwordx4 v[27:28], v[6:9], off offset:8
.LBB4_528:                              ;   in Loop: Header=BB4_465 Depth=1
	s_or_b64 exec, exec, s[26:27]
	s_lshl_b64 s[22:23], s[24:25], 12
	v_mov_b32_e32 v6, s23
	v_add_co_u32_e32 v24, vcc, s22, v24
	v_addc_co_u32_e32 v30, vcc, v25, v6, vcc
	v_cmp_gt_u64_e64 vcc, s[16:17], 56
	v_or_b32_e32 v7, v0, v29
	s_lshl_b32 s15, s18, 2
	v_cndmask_b32_e32 v0, v7, v0, vcc
	s_add_i32 s15, s15, 28
	v_or_b32_e32 v6, 0, v1
	s_and_b32 s15, s15, 0x1e0
	v_and_b32_e32 v0, 0xffffff1f, v0
	v_cndmask_b32_e32 v1, v6, v1, vcc
	v_or_b32_e32 v0, s15, v0
	v_readfirstlane_b32 s22, v24
	v_readfirstlane_b32 s23, v30
	s_nop 4
	global_store_dwordx4 v39, v[0:3], s[22:23]
	global_store_dwordx4 v39, v[10:13], s[22:23] offset:16
	global_store_dwordx4 v39, v[14:17], s[22:23] offset:32
	;; [unrolled: 1-line block ×3, first 2 shown]
	s_and_saveexec_b64 s[22:23], s[4:5]
	s_cbranch_execz .LBB4_536
; %bb.529:                              ;   in Loop: Header=BB4_465 Depth=1
	global_load_dwordx2 v[12:13], v26, s[36:37] offset:32 glc
	global_load_dwordx2 v[0:1], v26, s[36:37] offset:40
	v_mov_b32_e32 v10, s20
	v_mov_b32_e32 v11, s21
	s_waitcnt vmcnt(0)
	v_readfirstlane_b32 s24, v0
	v_readfirstlane_b32 s25, v1
	s_and_b64 s[24:25], s[24:25], s[20:21]
	s_mul_i32 s15, s25, 24
	s_mul_hi_u32 s25, s24, 24
	s_mul_i32 s24, s24, 24
	s_add_i32 s15, s25, s15
	v_mov_b32_e32 v0, s15
	v_add_co_u32_e32 v6, vcc, s24, v22
	v_addc_co_u32_e32 v7, vcc, v23, v0, vcc
	global_store_dwordx2 v[6:7], v[12:13], off
	s_waitcnt vmcnt(0)
	global_atomic_cmpswap_x2 v[2:3], v26, v[10:13], s[36:37] offset:32 glc
	s_waitcnt vmcnt(0)
	v_cmp_ne_u64_e32 vcc, v[2:3], v[12:13]
	s_and_saveexec_b64 s[24:25], vcc
	s_cbranch_execz .LBB4_532
; %bb.530:                              ;   in Loop: Header=BB4_465 Depth=1
	s_mov_b64 s[26:27], 0
.LBB4_531:                              ;   Parent Loop BB4_465 Depth=1
                                        ; =>  This Inner Loop Header: Depth=2
	s_sleep 1
	global_store_dwordx2 v[6:7], v[2:3], off
	v_mov_b32_e32 v0, s20
	v_mov_b32_e32 v1, s21
	s_waitcnt vmcnt(0)
	global_atomic_cmpswap_x2 v[0:1], v26, v[0:3], s[36:37] offset:32 glc
	s_waitcnt vmcnt(0)
	v_cmp_eq_u64_e32 vcc, v[0:1], v[2:3]
	v_mov_b32_e32 v3, v1
	s_or_b64 s[26:27], vcc, s[26:27]
	v_mov_b32_e32 v2, v0
	s_andn2_b64 exec, exec, s[26:27]
	s_cbranch_execnz .LBB4_531
.LBB4_532:                              ;   in Loop: Header=BB4_465 Depth=1
	s_or_b64 exec, exec, s[24:25]
	global_load_dwordx2 v[0:1], v26, s[36:37] offset:16
	s_mov_b64 s[26:27], exec
	v_mbcnt_lo_u32_b32 v2, s26, 0
	v_mbcnt_hi_u32_b32 v2, s27, v2
	v_cmp_eq_u32_e32 vcc, 0, v2
	s_and_saveexec_b64 s[24:25], vcc
	s_cbranch_execz .LBB4_534
; %bb.533:                              ;   in Loop: Header=BB4_465 Depth=1
	s_bcnt1_i32_b64 s15, s[26:27]
	v_mov_b32_e32 v25, s15
	s_waitcnt vmcnt(0)
	global_atomic_add_x2 v[0:1], v[25:26], off offset:8
.LBB4_534:                              ;   in Loop: Header=BB4_465 Depth=1
	s_or_b64 exec, exec, s[24:25]
	s_waitcnt vmcnt(0)
	global_load_dwordx2 v[2:3], v[0:1], off offset:16
	s_waitcnt vmcnt(0)
	v_cmp_eq_u64_e32 vcc, 0, v[2:3]
	s_cbranch_vccnz .LBB4_536
; %bb.535:                              ;   in Loop: Header=BB4_465 Depth=1
	global_load_dword v25, v[0:1], off offset:24
	s_waitcnt vmcnt(0)
	v_and_b32_e32 v0, 0xffffff, v25
	v_readfirstlane_b32 m0, v0
	global_store_dwordx2 v[2:3], v[25:26], off
	s_sendmsg sendmsg(MSG_INTERRUPT)
.LBB4_536:                              ;   in Loop: Header=BB4_465 Depth=1
	s_or_b64 exec, exec, s[22:23]
	v_add_co_u32_e32 v0, vcc, v24, v39
	v_addc_co_u32_e32 v1, vcc, 0, v30, vcc
	s_branch .LBB4_540
.LBB4_537:                              ;   in Loop: Header=BB4_540 Depth=2
	s_or_b64 exec, exec, s[22:23]
	v_readfirstlane_b32 s15, v2
	s_cmp_eq_u32 s15, 0
	s_cbranch_scc1 .LBB4_539
; %bb.538:                              ;   in Loop: Header=BB4_540 Depth=2
	s_sleep 1
	s_cbranch_execnz .LBB4_540
	s_branch .LBB4_542
.LBB4_539:                              ;   in Loop: Header=BB4_465 Depth=1
	s_branch .LBB4_542
.LBB4_540:                              ;   Parent Loop BB4_465 Depth=1
                                        ; =>  This Inner Loop Header: Depth=2
	v_mov_b32_e32 v2, 1
	s_and_saveexec_b64 s[22:23], s[4:5]
	s_cbranch_execz .LBB4_537
; %bb.541:                              ;   in Loop: Header=BB4_540 Depth=2
	global_load_dword v2, v[27:28], off offset:20 glc
	s_waitcnt vmcnt(0)
	buffer_wbinvl1_vol
	v_and_b32_e32 v2, 1, v2
	s_branch .LBB4_537
.LBB4_542:                              ;   in Loop: Header=BB4_465 Depth=1
	global_load_dwordx4 v[0:3], v[0:1], off
	s_and_saveexec_b64 s[22:23], s[4:5]
	s_cbranch_execz .LBB4_464
; %bb.543:                              ;   in Loop: Header=BB4_465 Depth=1
	global_load_dwordx2 v[2:3], v26, s[36:37] offset:40
	global_load_dwordx2 v[6:7], v26, s[36:37] offset:24 glc
	global_load_dwordx2 v[13:14], v26, s[36:37]
	v_mov_b32_e32 v11, s21
	s_waitcnt vmcnt(2)
	v_add_co_u32_e32 v12, vcc, 1, v2
	v_addc_co_u32_e32 v15, vcc, 0, v3, vcc
	v_add_co_u32_e32 v10, vcc, s20, v12
	v_addc_co_u32_e32 v11, vcc, v15, v11, vcc
	v_cmp_eq_u64_e32 vcc, 0, v[10:11]
	v_cndmask_b32_e32 v11, v11, v15, vcc
	v_cndmask_b32_e32 v10, v10, v12, vcc
	v_and_b32_e32 v3, v11, v3
	v_and_b32_e32 v2, v10, v2
	v_mul_lo_u32 v3, v3, 24
	v_mul_hi_u32 v15, v2, 24
	v_mul_lo_u32 v2, v2, 24
	s_waitcnt vmcnt(1)
	v_mov_b32_e32 v12, v6
	v_add_u32_e32 v3, v15, v3
	s_waitcnt vmcnt(0)
	v_add_co_u32_e32 v2, vcc, v13, v2
	v_addc_co_u32_e32 v3, vcc, v14, v3, vcc
	global_store_dwordx2 v[2:3], v[6:7], off
	v_mov_b32_e32 v13, v7
	s_waitcnt vmcnt(0)
	global_atomic_cmpswap_x2 v[12:13], v26, v[10:13], s[36:37] offset:24 glc
	s_waitcnt vmcnt(0)
	v_cmp_ne_u64_e32 vcc, v[12:13], v[6:7]
	s_and_b64 exec, exec, vcc
	s_cbranch_execz .LBB4_464
; %bb.544:                              ;   in Loop: Header=BB4_465 Depth=1
	s_mov_b64 s[4:5], 0
.LBB4_545:                              ;   Parent Loop BB4_465 Depth=1
                                        ; =>  This Inner Loop Header: Depth=2
	s_sleep 1
	global_store_dwordx2 v[2:3], v[12:13], off
	s_waitcnt vmcnt(0)
	global_atomic_cmpswap_x2 v[6:7], v26, v[10:13], s[36:37] offset:24 glc
	s_waitcnt vmcnt(0)
	v_cmp_eq_u64_e32 vcc, v[6:7], v[12:13]
	v_mov_b32_e32 v13, v7
	s_or_b64 s[4:5], vcc, s[4:5]
	v_mov_b32_e32 v12, v6
	s_andn2_b64 exec, exec, s[4:5]
	s_cbranch_execnz .LBB4_545
	s_branch .LBB4_464
.LBB4_546:
	s_branch .LBB4_574
.LBB4_547:
                                        ; implicit-def: $vgpr0_vgpr1
	s_cbranch_execz .LBB4_574
; %bb.548:
	v_readfirstlane_b32 s4, v50
	v_mov_b32_e32 v7, 0
	v_mov_b32_e32 v8, 0
	v_cmp_eq_u32_e64 s[4:5], s4, v50
	s_and_saveexec_b64 s[10:11], s[4:5]
	s_cbranch_execz .LBB4_554
; %bb.549:
	s_waitcnt vmcnt(0)
	v_mov_b32_e32 v0, 0
	global_load_dwordx2 v[9:10], v0, s[36:37] offset:24 glc
	s_waitcnt vmcnt(0)
	buffer_wbinvl1_vol
	global_load_dwordx2 v[1:2], v0, s[36:37] offset:40
	global_load_dwordx2 v[6:7], v0, s[36:37]
	s_waitcnt vmcnt(1)
	v_and_b32_e32 v1, v1, v9
	v_and_b32_e32 v2, v2, v10
	v_mul_lo_u32 v2, v2, 24
	v_mul_hi_u32 v3, v1, 24
	v_mul_lo_u32 v1, v1, 24
	v_add_u32_e32 v2, v3, v2
	s_waitcnt vmcnt(0)
	v_add_co_u32_e32 v1, vcc, v6, v1
	v_addc_co_u32_e32 v2, vcc, v7, v2, vcc
	global_load_dwordx2 v[7:8], v[1:2], off glc
	s_waitcnt vmcnt(0)
	global_atomic_cmpswap_x2 v[7:8], v0, v[7:10], s[36:37] offset:24 glc
	s_waitcnt vmcnt(0)
	buffer_wbinvl1_vol
	v_cmp_ne_u64_e32 vcc, v[7:8], v[9:10]
	s_and_saveexec_b64 s[16:17], vcc
	s_cbranch_execz .LBB4_553
; %bb.550:
	s_mov_b64 s[18:19], 0
.LBB4_551:                              ; =>This Inner Loop Header: Depth=1
	s_sleep 1
	global_load_dwordx2 v[1:2], v0, s[36:37] offset:40
	global_load_dwordx2 v[11:12], v0, s[36:37]
	v_mov_b32_e32 v10, v8
	v_mov_b32_e32 v9, v7
	s_waitcnt vmcnt(1)
	v_and_b32_e32 v1, v1, v9
	s_waitcnt vmcnt(0)
	v_mad_u64_u32 v[6:7], s[20:21], v1, 24, v[11:12]
	v_and_b32_e32 v2, v2, v10
	v_mov_b32_e32 v1, v7
	v_mad_u64_u32 v[1:2], s[20:21], v2, 24, v[1:2]
	v_mov_b32_e32 v7, v1
	global_load_dwordx2 v[7:8], v[6:7], off glc
	s_waitcnt vmcnt(0)
	global_atomic_cmpswap_x2 v[7:8], v0, v[7:10], s[36:37] offset:24 glc
	s_waitcnt vmcnt(0)
	buffer_wbinvl1_vol
	v_cmp_eq_u64_e32 vcc, v[7:8], v[9:10]
	s_or_b64 s[18:19], vcc, s[18:19]
	s_andn2_b64 exec, exec, s[18:19]
	s_cbranch_execnz .LBB4_551
; %bb.552:
	s_or_b64 exec, exec, s[18:19]
.LBB4_553:
	s_or_b64 exec, exec, s[16:17]
.LBB4_554:
	s_or_b64 exec, exec, s[10:11]
	v_mov_b32_e32 v6, 0
	global_load_dwordx2 v[9:10], v6, s[36:37] offset:40
	global_load_dwordx4 v[0:3], v6, s[36:37]
	v_readfirstlane_b32 s10, v7
	v_readfirstlane_b32 s11, v8
	s_mov_b64 s[16:17], exec
	s_waitcnt vmcnt(1)
	v_readfirstlane_b32 s18, v9
	v_readfirstlane_b32 s19, v10
	s_and_b64 s[18:19], s[10:11], s[18:19]
	s_mul_i32 s15, s19, 24
	s_mul_hi_u32 s20, s18, 24
	s_mul_i32 s21, s18, 24
	s_add_i32 s15, s20, s15
	v_mov_b32_e32 v7, s15
	s_waitcnt vmcnt(0)
	v_add_co_u32_e32 v8, vcc, s21, v0
	v_addc_co_u32_e32 v9, vcc, v1, v7, vcc
	s_and_saveexec_b64 s[20:21], s[4:5]
	s_cbranch_execz .LBB4_556
; %bb.555:
	v_mov_b32_e32 v10, s16
	v_mov_b32_e32 v11, s17
	;; [unrolled: 1-line block ×4, first 2 shown]
	global_store_dwordx4 v[8:9], v[10:13], off offset:8
.LBB4_556:
	s_or_b64 exec, exec, s[20:21]
	s_lshl_b64 s[16:17], s[18:19], 12
	v_mov_b32_e32 v7, s17
	v_add_co_u32_e32 v2, vcc, s16, v2
	v_addc_co_u32_e32 v3, vcc, v3, v7, vcc
	s_movk_i32 s15, 0xff1f
	v_and_or_b32 v4, v4, s15, 32
	v_add_co_u32_e32 v10, vcc, v2, v39
	s_mov_b32 s16, 0
	v_mov_b32_e32 v7, v6
	v_readfirstlane_b32 s20, v2
	v_readfirstlane_b32 s21, v3
	v_addc_co_u32_e32 v11, vcc, 0, v3, vcc
	s_mov_b32 s17, s16
	s_mov_b32 s18, s16
	;; [unrolled: 1-line block ×3, first 2 shown]
	s_nop 0
	global_store_dwordx4 v39, v[4:7], s[20:21]
	v_mov_b32_e32 v2, s16
	v_mov_b32_e32 v3, s17
	v_mov_b32_e32 v4, s18
	v_mov_b32_e32 v5, s19
	global_store_dwordx4 v39, v[2:5], s[20:21] offset:16
	global_store_dwordx4 v39, v[2:5], s[20:21] offset:32
	;; [unrolled: 1-line block ×3, first 2 shown]
	s_and_saveexec_b64 s[16:17], s[4:5]
	s_cbranch_execz .LBB4_564
; %bb.557:
	v_mov_b32_e32 v6, 0
	global_load_dwordx2 v[14:15], v6, s[36:37] offset:32 glc
	global_load_dwordx2 v[2:3], v6, s[36:37] offset:40
	v_mov_b32_e32 v12, s10
	v_mov_b32_e32 v13, s11
	s_waitcnt vmcnt(0)
	v_readfirstlane_b32 s18, v2
	v_readfirstlane_b32 s19, v3
	s_and_b64 s[18:19], s[18:19], s[10:11]
	s_mul_i32 s15, s19, 24
	s_mul_hi_u32 s19, s18, 24
	s_mul_i32 s18, s18, 24
	s_add_i32 s15, s19, s15
	v_mov_b32_e32 v2, s15
	v_add_co_u32_e32 v4, vcc, s18, v0
	v_addc_co_u32_e32 v5, vcc, v1, v2, vcc
	global_store_dwordx2 v[4:5], v[14:15], off
	s_waitcnt vmcnt(0)
	global_atomic_cmpswap_x2 v[2:3], v6, v[12:15], s[36:37] offset:32 glc
	s_waitcnt vmcnt(0)
	v_cmp_ne_u64_e32 vcc, v[2:3], v[14:15]
	s_and_saveexec_b64 s[18:19], vcc
	s_cbranch_execz .LBB4_560
; %bb.558:
	s_mov_b64 s[20:21], 0
.LBB4_559:                              ; =>This Inner Loop Header: Depth=1
	s_sleep 1
	global_store_dwordx2 v[4:5], v[2:3], off
	v_mov_b32_e32 v0, s10
	v_mov_b32_e32 v1, s11
	s_waitcnt vmcnt(0)
	global_atomic_cmpswap_x2 v[0:1], v6, v[0:3], s[36:37] offset:32 glc
	s_waitcnt vmcnt(0)
	v_cmp_eq_u64_e32 vcc, v[0:1], v[2:3]
	v_mov_b32_e32 v3, v1
	s_or_b64 s[20:21], vcc, s[20:21]
	v_mov_b32_e32 v2, v0
	s_andn2_b64 exec, exec, s[20:21]
	s_cbranch_execnz .LBB4_559
.LBB4_560:
	s_or_b64 exec, exec, s[18:19]
	v_mov_b32_e32 v3, 0
	global_load_dwordx2 v[0:1], v3, s[36:37] offset:16
	s_mov_b64 s[18:19], exec
	v_mbcnt_lo_u32_b32 v2, s18, 0
	v_mbcnt_hi_u32_b32 v2, s19, v2
	v_cmp_eq_u32_e32 vcc, 0, v2
	s_and_saveexec_b64 s[20:21], vcc
	s_cbranch_execz .LBB4_562
; %bb.561:
	s_bcnt1_i32_b64 s15, s[18:19]
	v_mov_b32_e32 v2, s15
	s_waitcnt vmcnt(0)
	global_atomic_add_x2 v[0:1], v[2:3], off offset:8
.LBB4_562:
	s_or_b64 exec, exec, s[20:21]
	s_waitcnt vmcnt(0)
	global_load_dwordx2 v[2:3], v[0:1], off offset:16
	s_waitcnt vmcnt(0)
	v_cmp_eq_u64_e32 vcc, 0, v[2:3]
	s_cbranch_vccnz .LBB4_564
; %bb.563:
	global_load_dword v0, v[0:1], off offset:24
	v_mov_b32_e32 v1, 0
	s_waitcnt vmcnt(0)
	global_store_dwordx2 v[2:3], v[0:1], off
	v_and_b32_e32 v0, 0xffffff, v0
	v_readfirstlane_b32 m0, v0
	s_sendmsg sendmsg(MSG_INTERRUPT)
.LBB4_564:
	s_or_b64 exec, exec, s[16:17]
	s_branch .LBB4_568
.LBB4_565:                              ;   in Loop: Header=BB4_568 Depth=1
	s_or_b64 exec, exec, s[16:17]
	v_readfirstlane_b32 s15, v0
	s_cmp_eq_u32 s15, 0
	s_cbranch_scc1 .LBB4_567
; %bb.566:                              ;   in Loop: Header=BB4_568 Depth=1
	s_sleep 1
	s_cbranch_execnz .LBB4_568
	s_branch .LBB4_570
.LBB4_567:
	s_branch .LBB4_570
.LBB4_568:                              ; =>This Inner Loop Header: Depth=1
	v_mov_b32_e32 v0, 1
	s_and_saveexec_b64 s[16:17], s[4:5]
	s_cbranch_execz .LBB4_565
; %bb.569:                              ;   in Loop: Header=BB4_568 Depth=1
	global_load_dword v0, v[8:9], off offset:20 glc
	s_waitcnt vmcnt(0)
	buffer_wbinvl1_vol
	v_and_b32_e32 v0, 1, v0
	s_branch .LBB4_565
.LBB4_570:
	global_load_dwordx2 v[0:1], v[10:11], off
	s_and_saveexec_b64 s[16:17], s[4:5]
	s_cbranch_execz .LBB4_573
; %bb.571:
	v_mov_b32_e32 v8, 0
	global_load_dwordx2 v[4:5], v8, s[36:37] offset:40
	global_load_dwordx2 v[9:10], v8, s[36:37] offset:24 glc
	global_load_dwordx2 v[6:7], v8, s[36:37]
	v_mov_b32_e32 v3, s11
	s_mov_b64 s[4:5], 0
	s_waitcnt vmcnt(2)
	v_add_co_u32_e32 v11, vcc, 1, v4
	v_addc_co_u32_e32 v12, vcc, 0, v5, vcc
	v_add_co_u32_e32 v2, vcc, s10, v11
	v_addc_co_u32_e32 v3, vcc, v12, v3, vcc
	v_cmp_eq_u64_e32 vcc, 0, v[2:3]
	v_cndmask_b32_e32 v3, v3, v12, vcc
	v_cndmask_b32_e32 v2, v2, v11, vcc
	v_and_b32_e32 v5, v3, v5
	v_and_b32_e32 v4, v2, v4
	v_mul_lo_u32 v5, v5, 24
	v_mul_hi_u32 v11, v4, 24
	v_mul_lo_u32 v12, v4, 24
	s_waitcnt vmcnt(1)
	v_mov_b32_e32 v4, v9
	v_add_u32_e32 v5, v11, v5
	s_waitcnt vmcnt(0)
	v_add_co_u32_e32 v6, vcc, v6, v12
	v_addc_co_u32_e32 v7, vcc, v7, v5, vcc
	global_store_dwordx2 v[6:7], v[9:10], off
	v_mov_b32_e32 v5, v10
	s_waitcnt vmcnt(0)
	global_atomic_cmpswap_x2 v[4:5], v8, v[2:5], s[36:37] offset:24 glc
	s_waitcnt vmcnt(0)
	v_cmp_ne_u64_e32 vcc, v[4:5], v[9:10]
	s_and_b64 exec, exec, vcc
	s_cbranch_execz .LBB4_573
.LBB4_572:                              ; =>This Inner Loop Header: Depth=1
	s_sleep 1
	global_store_dwordx2 v[6:7], v[4:5], off
	s_waitcnt vmcnt(0)
	global_atomic_cmpswap_x2 v[9:10], v8, v[2:5], s[36:37] offset:24 glc
	s_waitcnt vmcnt(0)
	v_cmp_eq_u64_e32 vcc, v[9:10], v[4:5]
	v_mov_b32_e32 v4, v9
	s_or_b64 s[4:5], vcc, s[4:5]
	v_mov_b32_e32 v5, v10
	s_andn2_b64 exec, exec, s[4:5]
	s_cbranch_execnz .LBB4_572
.LBB4_573:
	s_or_b64 exec, exec, s[16:17]
.LBB4_574:
	s_getpc_b64 s[10:11]
	s_add_u32 s10, s10, .str.1@rel32@lo+4
	s_addc_u32 s11, s11, .str.1@rel32@hi+12
	s_cmp_lg_u64 s[10:11], 0
	s_cbranch_scc0 .LBB4_659
; %bb.575:
	s_waitcnt vmcnt(0)
	v_and_b32_e32 v6, -3, v0
	v_mov_b32_e32 v7, v1
	s_mov_b64 s[16:17], 0x53
	v_mov_b32_e32 v26, 0
	v_mov_b32_e32 v4, 2
	;; [unrolled: 1-line block ×3, first 2 shown]
	s_branch .LBB4_577
.LBB4_576:                              ;   in Loop: Header=BB4_577 Depth=1
	s_or_b64 exec, exec, s[22:23]
	s_sub_u32 s16, s16, s18
	s_subb_u32 s17, s17, s19
	s_add_u32 s10, s10, s18
	s_addc_u32 s11, s11, s19
	s_cmp_lg_u64 s[16:17], 0
	s_cbranch_scc0 .LBB4_658
.LBB4_577:                              ; =>This Loop Header: Depth=1
                                        ;     Child Loop BB4_580 Depth 2
                                        ;     Child Loop BB4_587 Depth 2
	;; [unrolled: 1-line block ×11, first 2 shown]
	v_cmp_lt_u64_e64 s[4:5], s[16:17], 56
	v_cmp_gt_u64_e64 s[20:21], s[16:17], 7
	s_and_b64 s[4:5], s[4:5], exec
	s_cselect_b32 s19, s17, 0
	s_cselect_b32 s18, s16, 56
	s_and_b64 vcc, exec, s[20:21]
	s_cbranch_vccnz .LBB4_582
; %bb.578:                              ;   in Loop: Header=BB4_577 Depth=1
	s_waitcnt vmcnt(0)
	v_mov_b32_e32 v8, 0
	s_cmp_eq_u64 s[16:17], 0
	v_mov_b32_e32 v9, 0
	s_mov_b64 s[4:5], 0
	s_cbranch_scc1 .LBB4_581
; %bb.579:                              ;   in Loop: Header=BB4_577 Depth=1
	v_mov_b32_e32 v8, 0
	s_lshl_b64 s[20:21], s[18:19], 3
	s_mov_b64 s[22:23], 0
	v_mov_b32_e32 v9, 0
	s_mov_b64 s[24:25], s[10:11]
.LBB4_580:                              ;   Parent Loop BB4_577 Depth=1
                                        ; =>  This Inner Loop Header: Depth=2
	global_load_ubyte v2, v26, s[24:25]
	s_waitcnt vmcnt(0)
	v_and_b32_e32 v25, 0xffff, v2
	v_lshlrev_b64 v[2:3], s22, v[25:26]
	s_add_u32 s22, s22, 8
	s_addc_u32 s23, s23, 0
	s_add_u32 s24, s24, 1
	s_addc_u32 s25, s25, 0
	v_or_b32_e32 v8, v2, v8
	s_cmp_lg_u32 s20, s22
	v_or_b32_e32 v9, v3, v9
	s_cbranch_scc1 .LBB4_580
.LBB4_581:                              ;   in Loop: Header=BB4_577 Depth=1
	s_mov_b32 s15, 0
	s_andn2_b64 vcc, exec, s[4:5]
	s_mov_b64 s[4:5], s[10:11]
	s_cbranch_vccz .LBB4_583
	s_branch .LBB4_584
.LBB4_582:                              ;   in Loop: Header=BB4_577 Depth=1
                                        ; implicit-def: $sgpr15
	s_mov_b64 s[4:5], s[10:11]
.LBB4_583:                              ;   in Loop: Header=BB4_577 Depth=1
	global_load_dwordx2 v[8:9], v26, s[10:11]
	s_add_i32 s15, s18, -8
	s_add_u32 s4, s10, 8
	s_addc_u32 s5, s11, 0
.LBB4_584:                              ;   in Loop: Header=BB4_577 Depth=1
	s_cmp_gt_u32 s15, 7
	s_cbranch_scc1 .LBB4_588
; %bb.585:                              ;   in Loop: Header=BB4_577 Depth=1
	s_cmp_eq_u32 s15, 0
	s_cbranch_scc1 .LBB4_589
; %bb.586:                              ;   in Loop: Header=BB4_577 Depth=1
	v_mov_b32_e32 v10, 0
	s_mov_b64 s[20:21], 0
	v_mov_b32_e32 v11, 0
	s_mov_b64 s[22:23], 0
.LBB4_587:                              ;   Parent Loop BB4_577 Depth=1
                                        ; =>  This Inner Loop Header: Depth=2
	s_add_u32 s24, s4, s22
	s_addc_u32 s25, s5, s23
	global_load_ubyte v2, v26, s[24:25]
	s_add_u32 s22, s22, 1
	s_addc_u32 s23, s23, 0
	s_waitcnt vmcnt(0)
	v_and_b32_e32 v25, 0xffff, v2
	v_lshlrev_b64 v[2:3], s20, v[25:26]
	s_add_u32 s20, s20, 8
	s_addc_u32 s21, s21, 0
	v_or_b32_e32 v10, v2, v10
	s_cmp_lg_u32 s15, s22
	v_or_b32_e32 v11, v3, v11
	s_cbranch_scc1 .LBB4_587
	s_branch .LBB4_590
.LBB4_588:                              ;   in Loop: Header=BB4_577 Depth=1
                                        ; implicit-def: $vgpr10_vgpr11
                                        ; implicit-def: $sgpr24
	s_branch .LBB4_591
.LBB4_589:                              ;   in Loop: Header=BB4_577 Depth=1
	v_mov_b32_e32 v10, 0
	v_mov_b32_e32 v11, 0
.LBB4_590:                              ;   in Loop: Header=BB4_577 Depth=1
	s_mov_b32 s24, 0
	s_cbranch_execnz .LBB4_592
.LBB4_591:                              ;   in Loop: Header=BB4_577 Depth=1
	global_load_dwordx2 v[10:11], v26, s[4:5]
	s_add_i32 s24, s15, -8
	s_add_u32 s4, s4, 8
	s_addc_u32 s5, s5, 0
.LBB4_592:                              ;   in Loop: Header=BB4_577 Depth=1
	s_cmp_gt_u32 s24, 7
	s_cbranch_scc1 .LBB4_596
; %bb.593:                              ;   in Loop: Header=BB4_577 Depth=1
	s_cmp_eq_u32 s24, 0
	s_cbranch_scc1 .LBB4_597
; %bb.594:                              ;   in Loop: Header=BB4_577 Depth=1
	v_mov_b32_e32 v12, 0
	s_mov_b64 s[20:21], 0
	v_mov_b32_e32 v13, 0
	s_mov_b64 s[22:23], 0
.LBB4_595:                              ;   Parent Loop BB4_577 Depth=1
                                        ; =>  This Inner Loop Header: Depth=2
	s_add_u32 s26, s4, s22
	s_addc_u32 s27, s5, s23
	global_load_ubyte v2, v26, s[26:27]
	s_add_u32 s22, s22, 1
	s_addc_u32 s23, s23, 0
	s_waitcnt vmcnt(0)
	v_and_b32_e32 v25, 0xffff, v2
	v_lshlrev_b64 v[2:3], s20, v[25:26]
	s_add_u32 s20, s20, 8
	s_addc_u32 s21, s21, 0
	v_or_b32_e32 v12, v2, v12
	s_cmp_lg_u32 s24, s22
	v_or_b32_e32 v13, v3, v13
	s_cbranch_scc1 .LBB4_595
	s_branch .LBB4_598
.LBB4_596:                              ;   in Loop: Header=BB4_577 Depth=1
                                        ; implicit-def: $sgpr15
	s_branch .LBB4_599
.LBB4_597:                              ;   in Loop: Header=BB4_577 Depth=1
	v_mov_b32_e32 v12, 0
	v_mov_b32_e32 v13, 0
.LBB4_598:                              ;   in Loop: Header=BB4_577 Depth=1
	s_mov_b32 s15, 0
	s_cbranch_execnz .LBB4_600
.LBB4_599:                              ;   in Loop: Header=BB4_577 Depth=1
	global_load_dwordx2 v[12:13], v26, s[4:5]
	s_add_i32 s15, s24, -8
	s_add_u32 s4, s4, 8
	s_addc_u32 s5, s5, 0
.LBB4_600:                              ;   in Loop: Header=BB4_577 Depth=1
	s_cmp_gt_u32 s15, 7
	s_cbranch_scc1 .LBB4_604
; %bb.601:                              ;   in Loop: Header=BB4_577 Depth=1
	s_cmp_eq_u32 s15, 0
	s_cbranch_scc1 .LBB4_605
; %bb.602:                              ;   in Loop: Header=BB4_577 Depth=1
	v_mov_b32_e32 v14, 0
	s_mov_b64 s[20:21], 0
	v_mov_b32_e32 v15, 0
	s_mov_b64 s[22:23], 0
.LBB4_603:                              ;   Parent Loop BB4_577 Depth=1
                                        ; =>  This Inner Loop Header: Depth=2
	s_add_u32 s24, s4, s22
	s_addc_u32 s25, s5, s23
	global_load_ubyte v2, v26, s[24:25]
	s_add_u32 s22, s22, 1
	s_addc_u32 s23, s23, 0
	s_waitcnt vmcnt(0)
	v_and_b32_e32 v25, 0xffff, v2
	v_lshlrev_b64 v[2:3], s20, v[25:26]
	s_add_u32 s20, s20, 8
	s_addc_u32 s21, s21, 0
	v_or_b32_e32 v14, v2, v14
	s_cmp_lg_u32 s15, s22
	v_or_b32_e32 v15, v3, v15
	s_cbranch_scc1 .LBB4_603
	s_branch .LBB4_606
.LBB4_604:                              ;   in Loop: Header=BB4_577 Depth=1
                                        ; implicit-def: $vgpr14_vgpr15
                                        ; implicit-def: $sgpr24
	s_branch .LBB4_607
.LBB4_605:                              ;   in Loop: Header=BB4_577 Depth=1
	v_mov_b32_e32 v14, 0
	v_mov_b32_e32 v15, 0
.LBB4_606:                              ;   in Loop: Header=BB4_577 Depth=1
	s_mov_b32 s24, 0
	s_cbranch_execnz .LBB4_608
.LBB4_607:                              ;   in Loop: Header=BB4_577 Depth=1
	global_load_dwordx2 v[14:15], v26, s[4:5]
	s_add_i32 s24, s15, -8
	s_add_u32 s4, s4, 8
	s_addc_u32 s5, s5, 0
.LBB4_608:                              ;   in Loop: Header=BB4_577 Depth=1
	s_cmp_gt_u32 s24, 7
	s_cbranch_scc1 .LBB4_612
; %bb.609:                              ;   in Loop: Header=BB4_577 Depth=1
	s_cmp_eq_u32 s24, 0
	s_cbranch_scc1 .LBB4_613
; %bb.610:                              ;   in Loop: Header=BB4_577 Depth=1
	v_mov_b32_e32 v16, 0
	s_mov_b64 s[20:21], 0
	v_mov_b32_e32 v17, 0
	s_mov_b64 s[22:23], 0
.LBB4_611:                              ;   Parent Loop BB4_577 Depth=1
                                        ; =>  This Inner Loop Header: Depth=2
	s_add_u32 s26, s4, s22
	s_addc_u32 s27, s5, s23
	global_load_ubyte v2, v26, s[26:27]
	s_add_u32 s22, s22, 1
	s_addc_u32 s23, s23, 0
	s_waitcnt vmcnt(0)
	v_and_b32_e32 v25, 0xffff, v2
	v_lshlrev_b64 v[2:3], s20, v[25:26]
	s_add_u32 s20, s20, 8
	s_addc_u32 s21, s21, 0
	v_or_b32_e32 v16, v2, v16
	s_cmp_lg_u32 s24, s22
	v_or_b32_e32 v17, v3, v17
	s_cbranch_scc1 .LBB4_611
	s_branch .LBB4_614
.LBB4_612:                              ;   in Loop: Header=BB4_577 Depth=1
                                        ; implicit-def: $sgpr15
	s_branch .LBB4_615
.LBB4_613:                              ;   in Loop: Header=BB4_577 Depth=1
	v_mov_b32_e32 v16, 0
	v_mov_b32_e32 v17, 0
.LBB4_614:                              ;   in Loop: Header=BB4_577 Depth=1
	s_mov_b32 s15, 0
	s_cbranch_execnz .LBB4_616
.LBB4_615:                              ;   in Loop: Header=BB4_577 Depth=1
	global_load_dwordx2 v[16:17], v26, s[4:5]
	s_add_i32 s15, s24, -8
	s_add_u32 s4, s4, 8
	s_addc_u32 s5, s5, 0
.LBB4_616:                              ;   in Loop: Header=BB4_577 Depth=1
	s_cmp_gt_u32 s15, 7
	s_cbranch_scc1 .LBB4_620
; %bb.617:                              ;   in Loop: Header=BB4_577 Depth=1
	s_cmp_eq_u32 s15, 0
	s_cbranch_scc1 .LBB4_621
; %bb.618:                              ;   in Loop: Header=BB4_577 Depth=1
	v_mov_b32_e32 v18, 0
	s_mov_b64 s[20:21], 0
	v_mov_b32_e32 v19, 0
	s_mov_b64 s[22:23], 0
.LBB4_619:                              ;   Parent Loop BB4_577 Depth=1
                                        ; =>  This Inner Loop Header: Depth=2
	s_add_u32 s24, s4, s22
	s_addc_u32 s25, s5, s23
	global_load_ubyte v2, v26, s[24:25]
	s_add_u32 s22, s22, 1
	s_addc_u32 s23, s23, 0
	s_waitcnt vmcnt(0)
	v_and_b32_e32 v25, 0xffff, v2
	v_lshlrev_b64 v[2:3], s20, v[25:26]
	s_add_u32 s20, s20, 8
	s_addc_u32 s21, s21, 0
	v_or_b32_e32 v18, v2, v18
	s_cmp_lg_u32 s15, s22
	v_or_b32_e32 v19, v3, v19
	s_cbranch_scc1 .LBB4_619
	s_branch .LBB4_622
.LBB4_620:                              ;   in Loop: Header=BB4_577 Depth=1
                                        ; implicit-def: $vgpr18_vgpr19
                                        ; implicit-def: $sgpr24
	s_branch .LBB4_623
.LBB4_621:                              ;   in Loop: Header=BB4_577 Depth=1
	v_mov_b32_e32 v18, 0
	v_mov_b32_e32 v19, 0
.LBB4_622:                              ;   in Loop: Header=BB4_577 Depth=1
	s_mov_b32 s24, 0
	s_cbranch_execnz .LBB4_624
.LBB4_623:                              ;   in Loop: Header=BB4_577 Depth=1
	global_load_dwordx2 v[18:19], v26, s[4:5]
	s_add_i32 s24, s15, -8
	s_add_u32 s4, s4, 8
	s_addc_u32 s5, s5, 0
.LBB4_624:                              ;   in Loop: Header=BB4_577 Depth=1
	s_cmp_gt_u32 s24, 7
	s_cbranch_scc1 .LBB4_628
; %bb.625:                              ;   in Loop: Header=BB4_577 Depth=1
	s_cmp_eq_u32 s24, 0
	s_cbranch_scc1 .LBB4_629
; %bb.626:                              ;   in Loop: Header=BB4_577 Depth=1
	v_mov_b32_e32 v20, 0
	s_mov_b64 s[20:21], 0
	v_mov_b32_e32 v21, 0
	s_mov_b64 s[22:23], s[4:5]
.LBB4_627:                              ;   Parent Loop BB4_577 Depth=1
                                        ; =>  This Inner Loop Header: Depth=2
	global_load_ubyte v2, v26, s[22:23]
	s_add_i32 s24, s24, -1
	s_waitcnt vmcnt(0)
	v_and_b32_e32 v25, 0xffff, v2
	v_lshlrev_b64 v[2:3], s20, v[25:26]
	s_add_u32 s20, s20, 8
	s_addc_u32 s21, s21, 0
	s_add_u32 s22, s22, 1
	s_addc_u32 s23, s23, 0
	v_or_b32_e32 v20, v2, v20
	s_cmp_lg_u32 s24, 0
	v_or_b32_e32 v21, v3, v21
	s_cbranch_scc1 .LBB4_627
	s_branch .LBB4_630
.LBB4_628:                              ;   in Loop: Header=BB4_577 Depth=1
	s_branch .LBB4_631
.LBB4_629:                              ;   in Loop: Header=BB4_577 Depth=1
	v_mov_b32_e32 v20, 0
	v_mov_b32_e32 v21, 0
.LBB4_630:                              ;   in Loop: Header=BB4_577 Depth=1
	s_cbranch_execnz .LBB4_632
.LBB4_631:                              ;   in Loop: Header=BB4_577 Depth=1
	global_load_dwordx2 v[20:21], v26, s[4:5]
.LBB4_632:                              ;   in Loop: Header=BB4_577 Depth=1
	v_readfirstlane_b32 s4, v50
	v_mov_b32_e32 v2, 0
	v_mov_b32_e32 v3, 0
	v_cmp_eq_u32_e64 s[4:5], s4, v50
	s_and_saveexec_b64 s[20:21], s[4:5]
	s_cbranch_execz .LBB4_638
; %bb.633:                              ;   in Loop: Header=BB4_577 Depth=1
	global_load_dwordx2 v[24:25], v26, s[36:37] offset:24 glc
	s_waitcnt vmcnt(0)
	buffer_wbinvl1_vol
	global_load_dwordx2 v[2:3], v26, s[36:37] offset:40
	global_load_dwordx2 v[22:23], v26, s[36:37]
	s_waitcnt vmcnt(1)
	v_and_b32_e32 v2, v2, v24
	v_and_b32_e32 v3, v3, v25
	v_mul_lo_u32 v3, v3, 24
	v_mul_hi_u32 v27, v2, 24
	v_mul_lo_u32 v2, v2, 24
	v_add_u32_e32 v3, v27, v3
	s_waitcnt vmcnt(0)
	v_add_co_u32_e32 v2, vcc, v22, v2
	v_addc_co_u32_e32 v3, vcc, v23, v3, vcc
	global_load_dwordx2 v[22:23], v[2:3], off glc
	s_waitcnt vmcnt(0)
	global_atomic_cmpswap_x2 v[2:3], v26, v[22:25], s[36:37] offset:24 glc
	s_waitcnt vmcnt(0)
	buffer_wbinvl1_vol
	v_cmp_ne_u64_e32 vcc, v[2:3], v[24:25]
	s_and_saveexec_b64 s[22:23], vcc
	s_cbranch_execz .LBB4_637
; %bb.634:                              ;   in Loop: Header=BB4_577 Depth=1
	s_mov_b64 s[24:25], 0
.LBB4_635:                              ;   Parent Loop BB4_577 Depth=1
                                        ; =>  This Inner Loop Header: Depth=2
	s_sleep 1
	global_load_dwordx2 v[22:23], v26, s[36:37] offset:40
	global_load_dwordx2 v[27:28], v26, s[36:37]
	v_mov_b32_e32 v25, v3
	v_mov_b32_e32 v24, v2
	s_waitcnt vmcnt(1)
	v_and_b32_e32 v2, v22, v24
	s_waitcnt vmcnt(0)
	v_mad_u64_u32 v[2:3], s[26:27], v2, 24, v[27:28]
	v_and_b32_e32 v22, v23, v25
	v_mad_u64_u32 v[22:23], s[26:27], v22, 24, v[3:4]
	v_mov_b32_e32 v3, v22
	global_load_dwordx2 v[22:23], v[2:3], off glc
	s_waitcnt vmcnt(0)
	global_atomic_cmpswap_x2 v[2:3], v26, v[22:25], s[36:37] offset:24 glc
	s_waitcnt vmcnt(0)
	buffer_wbinvl1_vol
	v_cmp_eq_u64_e32 vcc, v[2:3], v[24:25]
	s_or_b64 s[24:25], vcc, s[24:25]
	s_andn2_b64 exec, exec, s[24:25]
	s_cbranch_execnz .LBB4_635
; %bb.636:                              ;   in Loop: Header=BB4_577 Depth=1
	s_or_b64 exec, exec, s[24:25]
.LBB4_637:                              ;   in Loop: Header=BB4_577 Depth=1
	s_or_b64 exec, exec, s[22:23]
.LBB4_638:                              ;   in Loop: Header=BB4_577 Depth=1
	s_or_b64 exec, exec, s[20:21]
	global_load_dwordx2 v[27:28], v26, s[36:37] offset:40
	global_load_dwordx4 v[22:25], v26, s[36:37]
	v_readfirstlane_b32 s20, v2
	v_readfirstlane_b32 s21, v3
	s_mov_b64 s[22:23], exec
	s_waitcnt vmcnt(1)
	v_readfirstlane_b32 s24, v27
	v_readfirstlane_b32 s25, v28
	s_and_b64 s[24:25], s[20:21], s[24:25]
	s_mul_i32 s15, s25, 24
	s_mul_hi_u32 s26, s24, 24
	s_mul_i32 s27, s24, 24
	s_add_i32 s15, s26, s15
	v_mov_b32_e32 v2, s15
	s_waitcnt vmcnt(0)
	v_add_co_u32_e32 v27, vcc, s27, v22
	v_addc_co_u32_e32 v28, vcc, v23, v2, vcc
	s_and_saveexec_b64 s[26:27], s[4:5]
	s_cbranch_execz .LBB4_640
; %bb.639:                              ;   in Loop: Header=BB4_577 Depth=1
	v_mov_b32_e32 v2, s22
	v_mov_b32_e32 v3, s23
	global_store_dwordx4 v[27:28], v[2:5], off offset:8
.LBB4_640:                              ;   in Loop: Header=BB4_577 Depth=1
	s_or_b64 exec, exec, s[26:27]
	s_lshl_b64 s[22:23], s[24:25], 12
	v_mov_b32_e32 v2, s23
	v_add_co_u32_e32 v24, vcc, s22, v24
	v_addc_co_u32_e32 v29, vcc, v25, v2, vcc
	v_cmp_gt_u64_e64 vcc, s[16:17], 56
	v_or_b32_e32 v2, 2, v6
	s_lshl_b32 s15, s18, 2
	v_cndmask_b32_e32 v2, v2, v6, vcc
	s_add_i32 s15, s15, 28
	s_and_b32 s15, s15, 0x1e0
	v_and_b32_e32 v2, 0xffffff1f, v2
	v_or_b32_e32 v6, s15, v2
	v_readfirstlane_b32 s22, v24
	v_readfirstlane_b32 s23, v29
	s_nop 4
	global_store_dwordx4 v39, v[6:9], s[22:23]
	global_store_dwordx4 v39, v[10:13], s[22:23] offset:16
	global_store_dwordx4 v39, v[14:17], s[22:23] offset:32
	global_store_dwordx4 v39, v[18:21], s[22:23] offset:48
	s_and_saveexec_b64 s[22:23], s[4:5]
	s_cbranch_execz .LBB4_648
; %bb.641:                              ;   in Loop: Header=BB4_577 Depth=1
	global_load_dwordx2 v[10:11], v26, s[36:37] offset:32 glc
	global_load_dwordx2 v[2:3], v26, s[36:37] offset:40
	v_mov_b32_e32 v8, s20
	v_mov_b32_e32 v9, s21
	s_waitcnt vmcnt(0)
	v_readfirstlane_b32 s24, v2
	v_readfirstlane_b32 s25, v3
	s_and_b64 s[24:25], s[24:25], s[20:21]
	s_mul_i32 s15, s25, 24
	s_mul_hi_u32 s25, s24, 24
	s_mul_i32 s24, s24, 24
	s_add_i32 s15, s25, s15
	v_mov_b32_e32 v3, s15
	v_add_co_u32_e32 v2, vcc, s24, v22
	v_addc_co_u32_e32 v3, vcc, v23, v3, vcc
	global_store_dwordx2 v[2:3], v[10:11], off
	s_waitcnt vmcnt(0)
	global_atomic_cmpswap_x2 v[8:9], v26, v[8:11], s[36:37] offset:32 glc
	s_waitcnt vmcnt(0)
	v_cmp_ne_u64_e32 vcc, v[8:9], v[10:11]
	s_and_saveexec_b64 s[24:25], vcc
	s_cbranch_execz .LBB4_644
; %bb.642:                              ;   in Loop: Header=BB4_577 Depth=1
	s_mov_b64 s[26:27], 0
.LBB4_643:                              ;   Parent Loop BB4_577 Depth=1
                                        ; =>  This Inner Loop Header: Depth=2
	s_sleep 1
	global_store_dwordx2 v[2:3], v[8:9], off
	v_mov_b32_e32 v6, s20
	v_mov_b32_e32 v7, s21
	s_waitcnt vmcnt(0)
	global_atomic_cmpswap_x2 v[6:7], v26, v[6:9], s[36:37] offset:32 glc
	s_waitcnt vmcnt(0)
	v_cmp_eq_u64_e32 vcc, v[6:7], v[8:9]
	v_mov_b32_e32 v9, v7
	s_or_b64 s[26:27], vcc, s[26:27]
	v_mov_b32_e32 v8, v6
	s_andn2_b64 exec, exec, s[26:27]
	s_cbranch_execnz .LBB4_643
.LBB4_644:                              ;   in Loop: Header=BB4_577 Depth=1
	s_or_b64 exec, exec, s[24:25]
	global_load_dwordx2 v[2:3], v26, s[36:37] offset:16
	s_mov_b64 s[26:27], exec
	v_mbcnt_lo_u32_b32 v6, s26, 0
	v_mbcnt_hi_u32_b32 v6, s27, v6
	v_cmp_eq_u32_e32 vcc, 0, v6
	s_and_saveexec_b64 s[24:25], vcc
	s_cbranch_execz .LBB4_646
; %bb.645:                              ;   in Loop: Header=BB4_577 Depth=1
	s_bcnt1_i32_b64 s15, s[26:27]
	v_mov_b32_e32 v25, s15
	s_waitcnt vmcnt(0)
	global_atomic_add_x2 v[2:3], v[25:26], off offset:8
.LBB4_646:                              ;   in Loop: Header=BB4_577 Depth=1
	s_or_b64 exec, exec, s[24:25]
	s_waitcnt vmcnt(0)
	global_load_dwordx2 v[6:7], v[2:3], off offset:16
	s_waitcnt vmcnt(0)
	v_cmp_eq_u64_e32 vcc, 0, v[6:7]
	s_cbranch_vccnz .LBB4_648
; %bb.647:                              ;   in Loop: Header=BB4_577 Depth=1
	global_load_dword v25, v[2:3], off offset:24
	s_waitcnt vmcnt(0)
	v_and_b32_e32 v2, 0xffffff, v25
	v_readfirstlane_b32 m0, v2
	global_store_dwordx2 v[6:7], v[25:26], off
	s_sendmsg sendmsg(MSG_INTERRUPT)
.LBB4_648:                              ;   in Loop: Header=BB4_577 Depth=1
	s_or_b64 exec, exec, s[22:23]
	v_add_co_u32_e32 v2, vcc, v24, v39
	v_addc_co_u32_e32 v3, vcc, 0, v29, vcc
	s_branch .LBB4_652
.LBB4_649:                              ;   in Loop: Header=BB4_652 Depth=2
	s_or_b64 exec, exec, s[22:23]
	v_readfirstlane_b32 s15, v6
	s_cmp_eq_u32 s15, 0
	s_cbranch_scc1 .LBB4_651
; %bb.650:                              ;   in Loop: Header=BB4_652 Depth=2
	s_sleep 1
	s_cbranch_execnz .LBB4_652
	s_branch .LBB4_654
.LBB4_651:                              ;   in Loop: Header=BB4_577 Depth=1
	s_branch .LBB4_654
.LBB4_652:                              ;   Parent Loop BB4_577 Depth=1
                                        ; =>  This Inner Loop Header: Depth=2
	v_mov_b32_e32 v6, 1
	s_and_saveexec_b64 s[22:23], s[4:5]
	s_cbranch_execz .LBB4_649
; %bb.653:                              ;   in Loop: Header=BB4_652 Depth=2
	global_load_dword v6, v[27:28], off offset:20 glc
	s_waitcnt vmcnt(0)
	buffer_wbinvl1_vol
	v_and_b32_e32 v6, 1, v6
	s_branch .LBB4_649
.LBB4_654:                              ;   in Loop: Header=BB4_577 Depth=1
	global_load_dwordx4 v[6:9], v[2:3], off
	s_and_saveexec_b64 s[22:23], s[4:5]
	s_cbranch_execz .LBB4_576
; %bb.655:                              ;   in Loop: Header=BB4_577 Depth=1
	global_load_dwordx2 v[2:3], v26, s[36:37] offset:40
	global_load_dwordx2 v[12:13], v26, s[36:37] offset:24 glc
	global_load_dwordx2 v[14:15], v26, s[36:37]
	s_waitcnt vmcnt(3)
	v_mov_b32_e32 v9, s21
	s_waitcnt vmcnt(2)
	v_add_co_u32_e32 v10, vcc, 1, v2
	v_addc_co_u32_e32 v11, vcc, 0, v3, vcc
	v_add_co_u32_e32 v8, vcc, s20, v10
	v_addc_co_u32_e32 v9, vcc, v11, v9, vcc
	v_cmp_eq_u64_e32 vcc, 0, v[8:9]
	v_cndmask_b32_e32 v9, v9, v11, vcc
	v_cndmask_b32_e32 v8, v8, v10, vcc
	v_and_b32_e32 v3, v9, v3
	v_and_b32_e32 v2, v8, v2
	v_mul_lo_u32 v3, v3, 24
	v_mul_hi_u32 v11, v2, 24
	v_mul_lo_u32 v2, v2, 24
	s_waitcnt vmcnt(1)
	v_mov_b32_e32 v10, v12
	v_add_u32_e32 v3, v11, v3
	s_waitcnt vmcnt(0)
	v_add_co_u32_e32 v2, vcc, v14, v2
	v_addc_co_u32_e32 v3, vcc, v15, v3, vcc
	global_store_dwordx2 v[2:3], v[12:13], off
	v_mov_b32_e32 v11, v13
	s_waitcnt vmcnt(0)
	global_atomic_cmpswap_x2 v[10:11], v26, v[8:11], s[36:37] offset:24 glc
	s_waitcnt vmcnt(0)
	v_cmp_ne_u64_e32 vcc, v[10:11], v[12:13]
	s_and_b64 exec, exec, vcc
	s_cbranch_execz .LBB4_576
; %bb.656:                              ;   in Loop: Header=BB4_577 Depth=1
	s_mov_b64 s[4:5], 0
.LBB4_657:                              ;   Parent Loop BB4_577 Depth=1
                                        ; =>  This Inner Loop Header: Depth=2
	s_sleep 1
	global_store_dwordx2 v[2:3], v[10:11], off
	s_waitcnt vmcnt(0)
	global_atomic_cmpswap_x2 v[12:13], v26, v[8:11], s[36:37] offset:24 glc
	s_waitcnt vmcnt(0)
	v_cmp_eq_u64_e32 vcc, v[12:13], v[10:11]
	v_mov_b32_e32 v10, v12
	s_or_b64 s[4:5], vcc, s[4:5]
	v_mov_b32_e32 v11, v13
	s_andn2_b64 exec, exec, s[4:5]
	s_cbranch_execnz .LBB4_657
	s_branch .LBB4_576
.LBB4_658:
	s_branch .LBB4_686
.LBB4_659:
	s_cbranch_execz .LBB4_686
; %bb.660:
	v_readfirstlane_b32 s4, v50
	s_waitcnt vmcnt(0)
	v_mov_b32_e32 v8, 0
	v_mov_b32_e32 v9, 0
	v_cmp_eq_u32_e64 s[4:5], s4, v50
	s_and_saveexec_b64 s[10:11], s[4:5]
	s_cbranch_execz .LBB4_666
; %bb.661:
	v_mov_b32_e32 v2, 0
	global_load_dwordx2 v[5:6], v2, s[36:37] offset:24 glc
	s_waitcnt vmcnt(0)
	buffer_wbinvl1_vol
	global_load_dwordx2 v[3:4], v2, s[36:37] offset:40
	global_load_dwordx2 v[7:8], v2, s[36:37]
	s_waitcnt vmcnt(1)
	v_and_b32_e32 v3, v3, v5
	v_and_b32_e32 v4, v4, v6
	v_mul_lo_u32 v4, v4, 24
	v_mul_hi_u32 v9, v3, 24
	v_mul_lo_u32 v3, v3, 24
	v_add_u32_e32 v4, v9, v4
	s_waitcnt vmcnt(0)
	v_add_co_u32_e32 v3, vcc, v7, v3
	v_addc_co_u32_e32 v4, vcc, v8, v4, vcc
	global_load_dwordx2 v[3:4], v[3:4], off glc
	s_waitcnt vmcnt(0)
	global_atomic_cmpswap_x2 v[8:9], v2, v[3:6], s[36:37] offset:24 glc
	s_waitcnt vmcnt(0)
	buffer_wbinvl1_vol
	v_cmp_ne_u64_e32 vcc, v[8:9], v[5:6]
	s_and_saveexec_b64 s[16:17], vcc
	s_cbranch_execz .LBB4_665
; %bb.662:
	s_mov_b64 s[18:19], 0
.LBB4_663:                              ; =>This Inner Loop Header: Depth=1
	s_sleep 1
	global_load_dwordx2 v[3:4], v2, s[36:37] offset:40
	global_load_dwordx2 v[10:11], v2, s[36:37]
	v_mov_b32_e32 v5, v8
	v_mov_b32_e32 v6, v9
	s_waitcnt vmcnt(1)
	v_and_b32_e32 v3, v3, v5
	s_waitcnt vmcnt(0)
	v_mad_u64_u32 v[7:8], s[20:21], v3, 24, v[10:11]
	v_and_b32_e32 v4, v4, v6
	v_mov_b32_e32 v3, v8
	v_mad_u64_u32 v[3:4], s[20:21], v4, 24, v[3:4]
	v_mov_b32_e32 v8, v3
	global_load_dwordx2 v[3:4], v[7:8], off glc
	s_waitcnt vmcnt(0)
	global_atomic_cmpswap_x2 v[8:9], v2, v[3:6], s[36:37] offset:24 glc
	s_waitcnt vmcnt(0)
	buffer_wbinvl1_vol
	v_cmp_eq_u64_e32 vcc, v[8:9], v[5:6]
	s_or_b64 s[18:19], vcc, s[18:19]
	s_andn2_b64 exec, exec, s[18:19]
	s_cbranch_execnz .LBB4_663
; %bb.664:
	s_or_b64 exec, exec, s[18:19]
.LBB4_665:
	s_or_b64 exec, exec, s[16:17]
.LBB4_666:
	s_or_b64 exec, exec, s[10:11]
	v_mov_b32_e32 v2, 0
	global_load_dwordx2 v[10:11], v2, s[36:37] offset:40
	global_load_dwordx4 v[4:7], v2, s[36:37]
	v_readfirstlane_b32 s10, v8
	v_readfirstlane_b32 s11, v9
	s_mov_b64 s[16:17], exec
	s_waitcnt vmcnt(1)
	v_readfirstlane_b32 s18, v10
	v_readfirstlane_b32 s19, v11
	s_and_b64 s[18:19], s[10:11], s[18:19]
	s_mul_i32 s15, s19, 24
	s_mul_hi_u32 s20, s18, 24
	s_mul_i32 s21, s18, 24
	s_add_i32 s15, s20, s15
	v_mov_b32_e32 v3, s15
	s_waitcnt vmcnt(0)
	v_add_co_u32_e32 v8, vcc, s21, v4
	v_addc_co_u32_e32 v9, vcc, v5, v3, vcc
	s_and_saveexec_b64 s[20:21], s[4:5]
	s_cbranch_execz .LBB4_668
; %bb.667:
	v_mov_b32_e32 v10, s16
	v_mov_b32_e32 v11, s17
	;; [unrolled: 1-line block ×4, first 2 shown]
	global_store_dwordx4 v[8:9], v[10:13], off offset:8
.LBB4_668:
	s_or_b64 exec, exec, s[20:21]
	s_lshl_b64 s[16:17], s[18:19], 12
	v_mov_b32_e32 v3, s17
	v_add_co_u32_e32 v6, vcc, s16, v6
	v_addc_co_u32_e32 v7, vcc, v7, v3, vcc
	s_movk_i32 s15, 0xff1d
	v_and_or_b32 v0, v0, s15, 34
	s_mov_b32 s16, 0
	v_mov_b32_e32 v3, v2
	v_readfirstlane_b32 s20, v6
	v_readfirstlane_b32 s21, v7
	s_mov_b32 s17, s16
	s_mov_b32 s18, s16
	s_mov_b32 s19, s16
	s_nop 1
	global_store_dwordx4 v39, v[0:3], s[20:21]
	s_nop 0
	v_mov_b32_e32 v0, s16
	v_mov_b32_e32 v1, s17
	;; [unrolled: 1-line block ×4, first 2 shown]
	global_store_dwordx4 v39, v[0:3], s[20:21] offset:16
	global_store_dwordx4 v39, v[0:3], s[20:21] offset:32
	;; [unrolled: 1-line block ×3, first 2 shown]
	s_and_saveexec_b64 s[16:17], s[4:5]
	s_cbranch_execz .LBB4_676
; %bb.669:
	v_mov_b32_e32 v6, 0
	global_load_dwordx2 v[12:13], v6, s[36:37] offset:32 glc
	global_load_dwordx2 v[0:1], v6, s[36:37] offset:40
	v_mov_b32_e32 v10, s10
	v_mov_b32_e32 v11, s11
	s_waitcnt vmcnt(0)
	v_readfirstlane_b32 s18, v0
	v_readfirstlane_b32 s19, v1
	s_and_b64 s[18:19], s[18:19], s[10:11]
	s_mul_i32 s15, s19, 24
	s_mul_hi_u32 s19, s18, 24
	s_mul_i32 s18, s18, 24
	s_add_i32 s15, s19, s15
	v_mov_b32_e32 v0, s15
	v_add_co_u32_e32 v4, vcc, s18, v4
	v_addc_co_u32_e32 v5, vcc, v5, v0, vcc
	global_store_dwordx2 v[4:5], v[12:13], off
	s_waitcnt vmcnt(0)
	global_atomic_cmpswap_x2 v[2:3], v6, v[10:13], s[36:37] offset:32 glc
	s_waitcnt vmcnt(0)
	v_cmp_ne_u64_e32 vcc, v[2:3], v[12:13]
	s_and_saveexec_b64 s[18:19], vcc
	s_cbranch_execz .LBB4_672
; %bb.670:
	s_mov_b64 s[20:21], 0
.LBB4_671:                              ; =>This Inner Loop Header: Depth=1
	s_sleep 1
	global_store_dwordx2 v[4:5], v[2:3], off
	v_mov_b32_e32 v0, s10
	v_mov_b32_e32 v1, s11
	s_waitcnt vmcnt(0)
	global_atomic_cmpswap_x2 v[0:1], v6, v[0:3], s[36:37] offset:32 glc
	s_waitcnt vmcnt(0)
	v_cmp_eq_u64_e32 vcc, v[0:1], v[2:3]
	v_mov_b32_e32 v3, v1
	s_or_b64 s[20:21], vcc, s[20:21]
	v_mov_b32_e32 v2, v0
	s_andn2_b64 exec, exec, s[20:21]
	s_cbranch_execnz .LBB4_671
.LBB4_672:
	s_or_b64 exec, exec, s[18:19]
	v_mov_b32_e32 v3, 0
	global_load_dwordx2 v[0:1], v3, s[36:37] offset:16
	s_mov_b64 s[18:19], exec
	v_mbcnt_lo_u32_b32 v2, s18, 0
	v_mbcnt_hi_u32_b32 v2, s19, v2
	v_cmp_eq_u32_e32 vcc, 0, v2
	s_and_saveexec_b64 s[20:21], vcc
	s_cbranch_execz .LBB4_674
; %bb.673:
	s_bcnt1_i32_b64 s15, s[18:19]
	v_mov_b32_e32 v2, s15
	s_waitcnt vmcnt(0)
	global_atomic_add_x2 v[0:1], v[2:3], off offset:8
.LBB4_674:
	s_or_b64 exec, exec, s[20:21]
	s_waitcnt vmcnt(0)
	global_load_dwordx2 v[2:3], v[0:1], off offset:16
	s_waitcnt vmcnt(0)
	v_cmp_eq_u64_e32 vcc, 0, v[2:3]
	s_cbranch_vccnz .LBB4_676
; %bb.675:
	global_load_dword v0, v[0:1], off offset:24
	v_mov_b32_e32 v1, 0
	s_waitcnt vmcnt(0)
	global_store_dwordx2 v[2:3], v[0:1], off
	v_and_b32_e32 v0, 0xffffff, v0
	v_readfirstlane_b32 m0, v0
	s_sendmsg sendmsg(MSG_INTERRUPT)
.LBB4_676:
	s_or_b64 exec, exec, s[16:17]
	s_branch .LBB4_680
.LBB4_677:                              ;   in Loop: Header=BB4_680 Depth=1
	s_or_b64 exec, exec, s[16:17]
	v_readfirstlane_b32 s15, v0
	s_cmp_eq_u32 s15, 0
	s_cbranch_scc1 .LBB4_679
; %bb.678:                              ;   in Loop: Header=BB4_680 Depth=1
	s_sleep 1
	s_cbranch_execnz .LBB4_680
	s_branch .LBB4_682
.LBB4_679:
	s_branch .LBB4_682
.LBB4_680:                              ; =>This Inner Loop Header: Depth=1
	v_mov_b32_e32 v0, 1
	s_and_saveexec_b64 s[16:17], s[4:5]
	s_cbranch_execz .LBB4_677
; %bb.681:                              ;   in Loop: Header=BB4_680 Depth=1
	global_load_dword v0, v[8:9], off offset:20 glc
	s_waitcnt vmcnt(0)
	buffer_wbinvl1_vol
	v_and_b32_e32 v0, 1, v0
	s_branch .LBB4_677
.LBB4_682:
	s_and_saveexec_b64 s[16:17], s[4:5]
	s_cbranch_execz .LBB4_685
; %bb.683:
	v_mov_b32_e32 v6, 0
	global_load_dwordx2 v[2:3], v6, s[36:37] offset:40
	global_load_dwordx2 v[7:8], v6, s[36:37] offset:24 glc
	global_load_dwordx2 v[4:5], v6, s[36:37]
	v_mov_b32_e32 v1, s11
	s_mov_b64 s[4:5], 0
	s_waitcnt vmcnt(2)
	v_add_co_u32_e32 v9, vcc, 1, v2
	v_addc_co_u32_e32 v10, vcc, 0, v3, vcc
	v_add_co_u32_e32 v0, vcc, s10, v9
	v_addc_co_u32_e32 v1, vcc, v10, v1, vcc
	v_cmp_eq_u64_e32 vcc, 0, v[0:1]
	v_cndmask_b32_e32 v1, v1, v10, vcc
	v_cndmask_b32_e32 v0, v0, v9, vcc
	v_and_b32_e32 v3, v1, v3
	v_and_b32_e32 v2, v0, v2
	v_mul_lo_u32 v3, v3, 24
	v_mul_hi_u32 v9, v2, 24
	v_mul_lo_u32 v10, v2, 24
	s_waitcnt vmcnt(1)
	v_mov_b32_e32 v2, v7
	v_add_u32_e32 v3, v9, v3
	s_waitcnt vmcnt(0)
	v_add_co_u32_e32 v4, vcc, v4, v10
	v_addc_co_u32_e32 v5, vcc, v5, v3, vcc
	global_store_dwordx2 v[4:5], v[7:8], off
	v_mov_b32_e32 v3, v8
	s_waitcnt vmcnt(0)
	global_atomic_cmpswap_x2 v[2:3], v6, v[0:3], s[36:37] offset:24 glc
	s_waitcnt vmcnt(0)
	v_cmp_ne_u64_e32 vcc, v[2:3], v[7:8]
	s_and_b64 exec, exec, vcc
	s_cbranch_execz .LBB4_685
.LBB4_684:                              ; =>This Inner Loop Header: Depth=1
	s_sleep 1
	global_store_dwordx2 v[4:5], v[2:3], off
	s_waitcnt vmcnt(0)
	global_atomic_cmpswap_x2 v[7:8], v6, v[0:3], s[36:37] offset:24 glc
	s_waitcnt vmcnt(0)
	v_cmp_eq_u64_e32 vcc, v[7:8], v[2:3]
	v_mov_b32_e32 v2, v7
	s_or_b64 s[4:5], vcc, s[4:5]
	v_mov_b32_e32 v3, v8
	s_andn2_b64 exec, exec, s[4:5]
	s_cbranch_execnz .LBB4_684
.LBB4_685:
	s_or_b64 exec, exec, s[16:17]
.LBB4_686:
	v_readfirstlane_b32 s4, v50
	s_waitcnt vmcnt(0)
	v_mov_b32_e32 v5, 0
	v_mov_b32_e32 v6, 0
	v_cmp_eq_u32_e64 s[4:5], s4, v50
	s_and_saveexec_b64 s[10:11], s[4:5]
	s_cbranch_execz .LBB4_692
; %bb.687:
	v_mov_b32_e32 v0, 0
	global_load_dwordx2 v[3:4], v0, s[36:37] offset:24 glc
	s_waitcnt vmcnt(0)
	buffer_wbinvl1_vol
	global_load_dwordx2 v[1:2], v0, s[36:37] offset:40
	global_load_dwordx2 v[5:6], v0, s[36:37]
	s_waitcnt vmcnt(1)
	v_and_b32_e32 v1, v1, v3
	v_and_b32_e32 v2, v2, v4
	v_mul_lo_u32 v2, v2, 24
	v_mul_hi_u32 v7, v1, 24
	v_mul_lo_u32 v1, v1, 24
	v_add_u32_e32 v2, v7, v2
	s_waitcnt vmcnt(0)
	v_add_co_u32_e32 v1, vcc, v5, v1
	v_addc_co_u32_e32 v2, vcc, v6, v2, vcc
	global_load_dwordx2 v[1:2], v[1:2], off glc
	s_waitcnt vmcnt(0)
	global_atomic_cmpswap_x2 v[5:6], v0, v[1:4], s[36:37] offset:24 glc
	s_waitcnt vmcnt(0)
	buffer_wbinvl1_vol
	v_cmp_ne_u64_e32 vcc, v[5:6], v[3:4]
	s_and_saveexec_b64 s[16:17], vcc
	s_cbranch_execz .LBB4_691
; %bb.688:
	s_mov_b64 s[18:19], 0
.LBB4_689:                              ; =>This Inner Loop Header: Depth=1
	s_sleep 1
	global_load_dwordx2 v[1:2], v0, s[36:37] offset:40
	global_load_dwordx2 v[7:8], v0, s[36:37]
	v_mov_b32_e32 v3, v5
	v_mov_b32_e32 v4, v6
	s_waitcnt vmcnt(1)
	v_and_b32_e32 v1, v1, v3
	s_waitcnt vmcnt(0)
	v_mad_u64_u32 v[5:6], s[20:21], v1, 24, v[7:8]
	v_and_b32_e32 v2, v2, v4
	v_mov_b32_e32 v1, v6
	v_mad_u64_u32 v[1:2], s[20:21], v2, 24, v[1:2]
	v_mov_b32_e32 v6, v1
	global_load_dwordx2 v[1:2], v[5:6], off glc
	s_waitcnt vmcnt(0)
	global_atomic_cmpswap_x2 v[5:6], v0, v[1:4], s[36:37] offset:24 glc
	s_waitcnt vmcnt(0)
	buffer_wbinvl1_vol
	v_cmp_eq_u64_e32 vcc, v[5:6], v[3:4]
	s_or_b64 s[18:19], vcc, s[18:19]
	s_andn2_b64 exec, exec, s[18:19]
	s_cbranch_execnz .LBB4_689
; %bb.690:
	s_or_b64 exec, exec, s[18:19]
.LBB4_691:
	s_or_b64 exec, exec, s[16:17]
.LBB4_692:
	s_or_b64 exec, exec, s[10:11]
	v_mov_b32_e32 v4, 0
	global_load_dwordx2 v[7:8], v4, s[36:37] offset:40
	global_load_dwordx4 v[0:3], v4, s[36:37]
	v_readfirstlane_b32 s10, v5
	v_readfirstlane_b32 s11, v6
	s_mov_b64 s[16:17], exec
	s_waitcnt vmcnt(1)
	v_readfirstlane_b32 s18, v7
	v_readfirstlane_b32 s19, v8
	s_and_b64 s[18:19], s[10:11], s[18:19]
	s_mul_i32 s15, s19, 24
	s_mul_hi_u32 s20, s18, 24
	s_mul_i32 s21, s18, 24
	s_add_i32 s15, s20, s15
	v_mov_b32_e32 v5, s15
	s_waitcnt vmcnt(0)
	v_add_co_u32_e32 v7, vcc, s21, v0
	v_addc_co_u32_e32 v8, vcc, v1, v5, vcc
	s_and_saveexec_b64 s[20:21], s[4:5]
	s_cbranch_execz .LBB4_694
; %bb.693:
	v_mov_b32_e32 v9, s16
	v_mov_b32_e32 v10, s17
	;; [unrolled: 1-line block ×4, first 2 shown]
	global_store_dwordx4 v[7:8], v[9:12], off offset:8
.LBB4_694:
	s_or_b64 exec, exec, s[20:21]
	s_lshl_b64 s[16:17], s[18:19], 12
	v_mov_b32_e32 v5, s17
	v_add_co_u32_e32 v2, vcc, s16, v2
	v_addc_co_u32_e32 v11, vcc, v3, v5, vcc
	s_mov_b32 s16, 0
	v_mov_b32_e32 v3, 33
	v_mov_b32_e32 v5, v4
	;; [unrolled: 1-line block ×3, first 2 shown]
	v_readfirstlane_b32 s20, v2
	v_readfirstlane_b32 s21, v11
	v_add_co_u32_e32 v9, vcc, v2, v39
	s_mov_b32 s17, s16
	s_mov_b32 s18, s16
	;; [unrolled: 1-line block ×3, first 2 shown]
	s_nop 0
	global_store_dwordx4 v39, v[3:6], s[20:21]
	v_mov_b32_e32 v2, s16
	v_addc_co_u32_e32 v10, vcc, 0, v11, vcc
	v_mov_b32_e32 v3, s17
	v_mov_b32_e32 v4, s18
	;; [unrolled: 1-line block ×3, first 2 shown]
	global_store_dwordx4 v39, v[2:5], s[20:21] offset:16
	global_store_dwordx4 v39, v[2:5], s[20:21] offset:32
	global_store_dwordx4 v39, v[2:5], s[20:21] offset:48
	s_and_saveexec_b64 s[16:17], s[4:5]
	s_cbranch_execz .LBB4_702
; %bb.695:
	v_mov_b32_e32 v6, 0
	global_load_dwordx2 v[13:14], v6, s[36:37] offset:32 glc
	global_load_dwordx2 v[2:3], v6, s[36:37] offset:40
	v_mov_b32_e32 v11, s10
	v_mov_b32_e32 v12, s11
	s_waitcnt vmcnt(0)
	v_readfirstlane_b32 s18, v2
	v_readfirstlane_b32 s19, v3
	s_and_b64 s[18:19], s[18:19], s[10:11]
	s_mul_i32 s15, s19, 24
	s_mul_hi_u32 s19, s18, 24
	s_mul_i32 s18, s18, 24
	s_add_i32 s15, s19, s15
	v_mov_b32_e32 v2, s15
	v_add_co_u32_e32 v4, vcc, s18, v0
	v_addc_co_u32_e32 v5, vcc, v1, v2, vcc
	global_store_dwordx2 v[4:5], v[13:14], off
	s_waitcnt vmcnt(0)
	global_atomic_cmpswap_x2 v[2:3], v6, v[11:14], s[36:37] offset:32 glc
	s_waitcnt vmcnt(0)
	v_cmp_ne_u64_e32 vcc, v[2:3], v[13:14]
	s_and_saveexec_b64 s[18:19], vcc
	s_cbranch_execz .LBB4_698
; %bb.696:
	s_mov_b64 s[20:21], 0
.LBB4_697:                              ; =>This Inner Loop Header: Depth=1
	s_sleep 1
	global_store_dwordx2 v[4:5], v[2:3], off
	v_mov_b32_e32 v0, s10
	v_mov_b32_e32 v1, s11
	s_waitcnt vmcnt(0)
	global_atomic_cmpswap_x2 v[0:1], v6, v[0:3], s[36:37] offset:32 glc
	s_waitcnt vmcnt(0)
	v_cmp_eq_u64_e32 vcc, v[0:1], v[2:3]
	v_mov_b32_e32 v3, v1
	s_or_b64 s[20:21], vcc, s[20:21]
	v_mov_b32_e32 v2, v0
	s_andn2_b64 exec, exec, s[20:21]
	s_cbranch_execnz .LBB4_697
.LBB4_698:
	s_or_b64 exec, exec, s[18:19]
	v_mov_b32_e32 v3, 0
	global_load_dwordx2 v[0:1], v3, s[36:37] offset:16
	s_mov_b64 s[18:19], exec
	v_mbcnt_lo_u32_b32 v2, s18, 0
	v_mbcnt_hi_u32_b32 v2, s19, v2
	v_cmp_eq_u32_e32 vcc, 0, v2
	s_and_saveexec_b64 s[20:21], vcc
	s_cbranch_execz .LBB4_700
; %bb.699:
	s_bcnt1_i32_b64 s15, s[18:19]
	v_mov_b32_e32 v2, s15
	s_waitcnt vmcnt(0)
	global_atomic_add_x2 v[0:1], v[2:3], off offset:8
.LBB4_700:
	s_or_b64 exec, exec, s[20:21]
	s_waitcnt vmcnt(0)
	global_load_dwordx2 v[2:3], v[0:1], off offset:16
	s_waitcnt vmcnt(0)
	v_cmp_eq_u64_e32 vcc, 0, v[2:3]
	s_cbranch_vccnz .LBB4_702
; %bb.701:
	global_load_dword v0, v[0:1], off offset:24
	v_mov_b32_e32 v1, 0
	s_waitcnt vmcnt(0)
	global_store_dwordx2 v[2:3], v[0:1], off
	v_and_b32_e32 v0, 0xffffff, v0
	v_readfirstlane_b32 m0, v0
	s_sendmsg sendmsg(MSG_INTERRUPT)
.LBB4_702:
	s_or_b64 exec, exec, s[16:17]
	s_branch .LBB4_706
.LBB4_703:                              ;   in Loop: Header=BB4_706 Depth=1
	s_or_b64 exec, exec, s[16:17]
	v_readfirstlane_b32 s15, v0
	s_cmp_eq_u32 s15, 0
	s_cbranch_scc1 .LBB4_705
; %bb.704:                              ;   in Loop: Header=BB4_706 Depth=1
	s_sleep 1
	s_cbranch_execnz .LBB4_706
	s_branch .LBB4_708
.LBB4_705:
	s_branch .LBB4_708
.LBB4_706:                              ; =>This Inner Loop Header: Depth=1
	v_mov_b32_e32 v0, 1
	s_and_saveexec_b64 s[16:17], s[4:5]
	s_cbranch_execz .LBB4_703
; %bb.707:                              ;   in Loop: Header=BB4_706 Depth=1
	global_load_dword v0, v[7:8], off offset:20 glc
	s_waitcnt vmcnt(0)
	buffer_wbinvl1_vol
	v_and_b32_e32 v0, 1, v0
	s_branch .LBB4_703
.LBB4_708:
	global_load_dwordx2 v[0:1], v[9:10], off
	s_and_saveexec_b64 s[16:17], s[4:5]
	s_cbranch_execz .LBB4_711
; %bb.709:
	v_mov_b32_e32 v8, 0
	global_load_dwordx2 v[4:5], v8, s[36:37] offset:40
	global_load_dwordx2 v[9:10], v8, s[36:37] offset:24 glc
	global_load_dwordx2 v[6:7], v8, s[36:37]
	v_mov_b32_e32 v3, s11
	s_mov_b64 s[4:5], 0
	s_waitcnt vmcnt(2)
	v_add_co_u32_e32 v11, vcc, 1, v4
	v_addc_co_u32_e32 v12, vcc, 0, v5, vcc
	v_add_co_u32_e32 v2, vcc, s10, v11
	v_addc_co_u32_e32 v3, vcc, v12, v3, vcc
	v_cmp_eq_u64_e32 vcc, 0, v[2:3]
	v_cndmask_b32_e32 v3, v3, v12, vcc
	v_cndmask_b32_e32 v2, v2, v11, vcc
	v_and_b32_e32 v5, v3, v5
	v_and_b32_e32 v4, v2, v4
	v_mul_lo_u32 v5, v5, 24
	v_mul_hi_u32 v11, v4, 24
	v_mul_lo_u32 v12, v4, 24
	s_waitcnt vmcnt(1)
	v_mov_b32_e32 v4, v9
	v_add_u32_e32 v5, v11, v5
	s_waitcnt vmcnt(0)
	v_add_co_u32_e32 v6, vcc, v6, v12
	v_addc_co_u32_e32 v7, vcc, v7, v5, vcc
	global_store_dwordx2 v[6:7], v[9:10], off
	v_mov_b32_e32 v5, v10
	s_waitcnt vmcnt(0)
	global_atomic_cmpswap_x2 v[4:5], v8, v[2:5], s[36:37] offset:24 glc
	s_waitcnt vmcnt(0)
	v_cmp_ne_u64_e32 vcc, v[4:5], v[9:10]
	s_and_b64 exec, exec, vcc
	s_cbranch_execz .LBB4_711
.LBB4_710:                              ; =>This Inner Loop Header: Depth=1
	s_sleep 1
	global_store_dwordx2 v[6:7], v[4:5], off
	s_waitcnt vmcnt(0)
	global_atomic_cmpswap_x2 v[9:10], v8, v[2:5], s[36:37] offset:24 glc
	s_waitcnt vmcnt(0)
	v_cmp_eq_u64_e32 vcc, v[9:10], v[4:5]
	v_mov_b32_e32 v4, v9
	s_or_b64 s[4:5], vcc, s[4:5]
	v_mov_b32_e32 v5, v10
	s_andn2_b64 exec, exec, s[4:5]
	s_cbranch_execnz .LBB4_710
.LBB4_711:
	s_or_b64 exec, exec, s[16:17]
	s_and_b64 vcc, exec, s[40:41]
	s_cbranch_vccz .LBB4_796
; %bb.712:
	s_waitcnt vmcnt(0)
	v_and_b32_e32 v31, 2, v0
	v_mov_b32_e32 v28, 0
	v_and_b32_e32 v2, -3, v0
	v_mov_b32_e32 v3, v1
	s_mov_b64 s[16:17], 3
	v_mov_b32_e32 v6, 2
	v_mov_b32_e32 v7, 1
	s_getpc_b64 s[10:11]
	s_add_u32 s10, s10, .str.6@rel32@lo+4
	s_addc_u32 s11, s11, .str.6@rel32@hi+12
	s_branch .LBB4_714
.LBB4_713:                              ;   in Loop: Header=BB4_714 Depth=1
	s_or_b64 exec, exec, s[22:23]
	s_sub_u32 s16, s16, s18
	s_subb_u32 s17, s17, s19
	s_add_u32 s10, s10, s18
	s_addc_u32 s11, s11, s19
	s_cmp_lg_u64 s[16:17], 0
	s_cbranch_scc0 .LBB4_795
.LBB4_714:                              ; =>This Loop Header: Depth=1
                                        ;     Child Loop BB4_717 Depth 2
                                        ;     Child Loop BB4_724 Depth 2
	;; [unrolled: 1-line block ×11, first 2 shown]
	v_cmp_lt_u64_e64 s[4:5], s[16:17], 56
	v_cmp_gt_u64_e64 s[20:21], s[16:17], 7
	s_and_b64 s[4:5], s[4:5], exec
	s_cselect_b32 s19, s17, 0
	s_cselect_b32 s18, s16, 56
	s_and_b64 vcc, exec, s[20:21]
	s_cbranch_vccnz .LBB4_719
; %bb.715:                              ;   in Loop: Header=BB4_714 Depth=1
	v_mov_b32_e32 v10, 0
	s_cmp_eq_u64 s[16:17], 0
	v_mov_b32_e32 v11, 0
	s_mov_b64 s[4:5], 0
	s_cbranch_scc1 .LBB4_718
; %bb.716:                              ;   in Loop: Header=BB4_714 Depth=1
	v_mov_b32_e32 v10, 0
	s_lshl_b64 s[20:21], s[18:19], 3
	s_mov_b64 s[22:23], 0
	v_mov_b32_e32 v11, 0
	s_mov_b64 s[24:25], s[10:11]
.LBB4_717:                              ;   Parent Loop BB4_714 Depth=1
                                        ; =>  This Inner Loop Header: Depth=2
	global_load_ubyte v4, v28, s[24:25]
	s_waitcnt vmcnt(0)
	v_and_b32_e32 v27, 0xffff, v4
	v_lshlrev_b64 v[4:5], s22, v[27:28]
	s_add_u32 s22, s22, 8
	s_addc_u32 s23, s23, 0
	s_add_u32 s24, s24, 1
	s_addc_u32 s25, s25, 0
	v_or_b32_e32 v10, v4, v10
	s_cmp_lg_u32 s20, s22
	v_or_b32_e32 v11, v5, v11
	s_cbranch_scc1 .LBB4_717
.LBB4_718:                              ;   in Loop: Header=BB4_714 Depth=1
	s_mov_b32 s15, 0
	s_andn2_b64 vcc, exec, s[4:5]
	s_mov_b64 s[4:5], s[10:11]
	s_cbranch_vccz .LBB4_720
	s_branch .LBB4_721
.LBB4_719:                              ;   in Loop: Header=BB4_714 Depth=1
                                        ; implicit-def: $vgpr10_vgpr11
                                        ; implicit-def: $sgpr15
	s_mov_b64 s[4:5], s[10:11]
.LBB4_720:                              ;   in Loop: Header=BB4_714 Depth=1
	global_load_dwordx2 v[10:11], v28, s[10:11]
	s_add_i32 s15, s18, -8
	s_add_u32 s4, s10, 8
	s_addc_u32 s5, s11, 0
.LBB4_721:                              ;   in Loop: Header=BB4_714 Depth=1
	s_cmp_gt_u32 s15, 7
	s_cbranch_scc1 .LBB4_725
; %bb.722:                              ;   in Loop: Header=BB4_714 Depth=1
	s_cmp_eq_u32 s15, 0
	s_cbranch_scc1 .LBB4_726
; %bb.723:                              ;   in Loop: Header=BB4_714 Depth=1
	v_mov_b32_e32 v12, 0
	s_mov_b64 s[20:21], 0
	v_mov_b32_e32 v13, 0
	s_mov_b64 s[22:23], 0
.LBB4_724:                              ;   Parent Loop BB4_714 Depth=1
                                        ; =>  This Inner Loop Header: Depth=2
	s_add_u32 s24, s4, s22
	s_addc_u32 s25, s5, s23
	global_load_ubyte v4, v28, s[24:25]
	s_add_u32 s22, s22, 1
	s_addc_u32 s23, s23, 0
	s_waitcnt vmcnt(0)
	v_and_b32_e32 v27, 0xffff, v4
	v_lshlrev_b64 v[4:5], s20, v[27:28]
	s_add_u32 s20, s20, 8
	s_addc_u32 s21, s21, 0
	v_or_b32_e32 v12, v4, v12
	s_cmp_lg_u32 s15, s22
	v_or_b32_e32 v13, v5, v13
	s_cbranch_scc1 .LBB4_724
	s_branch .LBB4_727
.LBB4_725:                              ;   in Loop: Header=BB4_714 Depth=1
                                        ; implicit-def: $vgpr12_vgpr13
                                        ; implicit-def: $sgpr24
	s_branch .LBB4_728
.LBB4_726:                              ;   in Loop: Header=BB4_714 Depth=1
	v_mov_b32_e32 v12, 0
	v_mov_b32_e32 v13, 0
.LBB4_727:                              ;   in Loop: Header=BB4_714 Depth=1
	s_mov_b32 s24, 0
	s_cbranch_execnz .LBB4_729
.LBB4_728:                              ;   in Loop: Header=BB4_714 Depth=1
	global_load_dwordx2 v[12:13], v28, s[4:5]
	s_add_i32 s24, s15, -8
	s_add_u32 s4, s4, 8
	s_addc_u32 s5, s5, 0
.LBB4_729:                              ;   in Loop: Header=BB4_714 Depth=1
	s_cmp_gt_u32 s24, 7
	s_cbranch_scc1 .LBB4_733
; %bb.730:                              ;   in Loop: Header=BB4_714 Depth=1
	s_cmp_eq_u32 s24, 0
	s_cbranch_scc1 .LBB4_734
; %bb.731:                              ;   in Loop: Header=BB4_714 Depth=1
	v_mov_b32_e32 v14, 0
	s_mov_b64 s[20:21], 0
	v_mov_b32_e32 v15, 0
	s_mov_b64 s[22:23], 0
.LBB4_732:                              ;   Parent Loop BB4_714 Depth=1
                                        ; =>  This Inner Loop Header: Depth=2
	s_add_u32 s26, s4, s22
	s_addc_u32 s27, s5, s23
	global_load_ubyte v4, v28, s[26:27]
	s_add_u32 s22, s22, 1
	s_addc_u32 s23, s23, 0
	s_waitcnt vmcnt(0)
	v_and_b32_e32 v27, 0xffff, v4
	v_lshlrev_b64 v[4:5], s20, v[27:28]
	s_add_u32 s20, s20, 8
	s_addc_u32 s21, s21, 0
	v_or_b32_e32 v14, v4, v14
	s_cmp_lg_u32 s24, s22
	v_or_b32_e32 v15, v5, v15
	s_cbranch_scc1 .LBB4_732
	s_branch .LBB4_735
.LBB4_733:                              ;   in Loop: Header=BB4_714 Depth=1
                                        ; implicit-def: $sgpr15
	s_branch .LBB4_736
.LBB4_734:                              ;   in Loop: Header=BB4_714 Depth=1
	v_mov_b32_e32 v14, 0
	v_mov_b32_e32 v15, 0
.LBB4_735:                              ;   in Loop: Header=BB4_714 Depth=1
	s_mov_b32 s15, 0
	s_cbranch_execnz .LBB4_737
.LBB4_736:                              ;   in Loop: Header=BB4_714 Depth=1
	global_load_dwordx2 v[14:15], v28, s[4:5]
	s_add_i32 s15, s24, -8
	s_add_u32 s4, s4, 8
	s_addc_u32 s5, s5, 0
.LBB4_737:                              ;   in Loop: Header=BB4_714 Depth=1
	s_cmp_gt_u32 s15, 7
	s_cbranch_scc1 .LBB4_741
; %bb.738:                              ;   in Loop: Header=BB4_714 Depth=1
	s_cmp_eq_u32 s15, 0
	s_cbranch_scc1 .LBB4_742
; %bb.739:                              ;   in Loop: Header=BB4_714 Depth=1
	v_mov_b32_e32 v16, 0
	s_mov_b64 s[20:21], 0
	v_mov_b32_e32 v17, 0
	s_mov_b64 s[22:23], 0
.LBB4_740:                              ;   Parent Loop BB4_714 Depth=1
                                        ; =>  This Inner Loop Header: Depth=2
	s_add_u32 s24, s4, s22
	s_addc_u32 s25, s5, s23
	global_load_ubyte v4, v28, s[24:25]
	s_add_u32 s22, s22, 1
	s_addc_u32 s23, s23, 0
	s_waitcnt vmcnt(0)
	v_and_b32_e32 v27, 0xffff, v4
	v_lshlrev_b64 v[4:5], s20, v[27:28]
	s_add_u32 s20, s20, 8
	s_addc_u32 s21, s21, 0
	v_or_b32_e32 v16, v4, v16
	s_cmp_lg_u32 s15, s22
	v_or_b32_e32 v17, v5, v17
	s_cbranch_scc1 .LBB4_740
	s_branch .LBB4_743
.LBB4_741:                              ;   in Loop: Header=BB4_714 Depth=1
                                        ; implicit-def: $vgpr16_vgpr17
                                        ; implicit-def: $sgpr24
	s_branch .LBB4_744
.LBB4_742:                              ;   in Loop: Header=BB4_714 Depth=1
	v_mov_b32_e32 v16, 0
	v_mov_b32_e32 v17, 0
.LBB4_743:                              ;   in Loop: Header=BB4_714 Depth=1
	s_mov_b32 s24, 0
	s_cbranch_execnz .LBB4_745
.LBB4_744:                              ;   in Loop: Header=BB4_714 Depth=1
	global_load_dwordx2 v[16:17], v28, s[4:5]
	s_add_i32 s24, s15, -8
	s_add_u32 s4, s4, 8
	s_addc_u32 s5, s5, 0
.LBB4_745:                              ;   in Loop: Header=BB4_714 Depth=1
	s_cmp_gt_u32 s24, 7
	s_cbranch_scc1 .LBB4_749
; %bb.746:                              ;   in Loop: Header=BB4_714 Depth=1
	s_cmp_eq_u32 s24, 0
	s_cbranch_scc1 .LBB4_750
; %bb.747:                              ;   in Loop: Header=BB4_714 Depth=1
	v_mov_b32_e32 v18, 0
	s_mov_b64 s[20:21], 0
	v_mov_b32_e32 v19, 0
	s_mov_b64 s[22:23], 0
.LBB4_748:                              ;   Parent Loop BB4_714 Depth=1
                                        ; =>  This Inner Loop Header: Depth=2
	s_add_u32 s26, s4, s22
	s_addc_u32 s27, s5, s23
	global_load_ubyte v4, v28, s[26:27]
	s_add_u32 s22, s22, 1
	s_addc_u32 s23, s23, 0
	s_waitcnt vmcnt(0)
	v_and_b32_e32 v27, 0xffff, v4
	v_lshlrev_b64 v[4:5], s20, v[27:28]
	s_add_u32 s20, s20, 8
	s_addc_u32 s21, s21, 0
	v_or_b32_e32 v18, v4, v18
	s_cmp_lg_u32 s24, s22
	v_or_b32_e32 v19, v5, v19
	s_cbranch_scc1 .LBB4_748
	s_branch .LBB4_751
.LBB4_749:                              ;   in Loop: Header=BB4_714 Depth=1
                                        ; implicit-def: $sgpr15
	s_branch .LBB4_752
.LBB4_750:                              ;   in Loop: Header=BB4_714 Depth=1
	v_mov_b32_e32 v18, 0
	v_mov_b32_e32 v19, 0
.LBB4_751:                              ;   in Loop: Header=BB4_714 Depth=1
	s_mov_b32 s15, 0
	s_cbranch_execnz .LBB4_753
.LBB4_752:                              ;   in Loop: Header=BB4_714 Depth=1
	global_load_dwordx2 v[18:19], v28, s[4:5]
	s_add_i32 s15, s24, -8
	s_add_u32 s4, s4, 8
	s_addc_u32 s5, s5, 0
.LBB4_753:                              ;   in Loop: Header=BB4_714 Depth=1
	s_cmp_gt_u32 s15, 7
	s_cbranch_scc1 .LBB4_757
; %bb.754:                              ;   in Loop: Header=BB4_714 Depth=1
	s_cmp_eq_u32 s15, 0
	s_cbranch_scc1 .LBB4_758
; %bb.755:                              ;   in Loop: Header=BB4_714 Depth=1
	v_mov_b32_e32 v20, 0
	s_mov_b64 s[20:21], 0
	v_mov_b32_e32 v21, 0
	s_mov_b64 s[22:23], 0
.LBB4_756:                              ;   Parent Loop BB4_714 Depth=1
                                        ; =>  This Inner Loop Header: Depth=2
	s_add_u32 s24, s4, s22
	s_addc_u32 s25, s5, s23
	global_load_ubyte v4, v28, s[24:25]
	s_add_u32 s22, s22, 1
	s_addc_u32 s23, s23, 0
	s_waitcnt vmcnt(0)
	v_and_b32_e32 v27, 0xffff, v4
	v_lshlrev_b64 v[4:5], s20, v[27:28]
	s_add_u32 s20, s20, 8
	s_addc_u32 s21, s21, 0
	v_or_b32_e32 v20, v4, v20
	s_cmp_lg_u32 s15, s22
	v_or_b32_e32 v21, v5, v21
	s_cbranch_scc1 .LBB4_756
	s_branch .LBB4_759
.LBB4_757:                              ;   in Loop: Header=BB4_714 Depth=1
                                        ; implicit-def: $vgpr20_vgpr21
                                        ; implicit-def: $sgpr24
	s_branch .LBB4_760
.LBB4_758:                              ;   in Loop: Header=BB4_714 Depth=1
	v_mov_b32_e32 v20, 0
	v_mov_b32_e32 v21, 0
.LBB4_759:                              ;   in Loop: Header=BB4_714 Depth=1
	s_mov_b32 s24, 0
	s_cbranch_execnz .LBB4_761
.LBB4_760:                              ;   in Loop: Header=BB4_714 Depth=1
	global_load_dwordx2 v[20:21], v28, s[4:5]
	s_add_i32 s24, s15, -8
	s_add_u32 s4, s4, 8
	s_addc_u32 s5, s5, 0
.LBB4_761:                              ;   in Loop: Header=BB4_714 Depth=1
	s_cmp_gt_u32 s24, 7
	s_cbranch_scc1 .LBB4_765
; %bb.762:                              ;   in Loop: Header=BB4_714 Depth=1
	s_cmp_eq_u32 s24, 0
	s_cbranch_scc1 .LBB4_766
; %bb.763:                              ;   in Loop: Header=BB4_714 Depth=1
	v_mov_b32_e32 v22, 0
	s_mov_b64 s[20:21], 0
	v_mov_b32_e32 v23, 0
	s_mov_b64 s[22:23], s[4:5]
.LBB4_764:                              ;   Parent Loop BB4_714 Depth=1
                                        ; =>  This Inner Loop Header: Depth=2
	global_load_ubyte v4, v28, s[22:23]
	s_add_i32 s24, s24, -1
	s_waitcnt vmcnt(0)
	v_and_b32_e32 v27, 0xffff, v4
	v_lshlrev_b64 v[4:5], s20, v[27:28]
	s_add_u32 s20, s20, 8
	s_addc_u32 s21, s21, 0
	s_add_u32 s22, s22, 1
	s_addc_u32 s23, s23, 0
	v_or_b32_e32 v22, v4, v22
	s_cmp_lg_u32 s24, 0
	v_or_b32_e32 v23, v5, v23
	s_cbranch_scc1 .LBB4_764
	s_branch .LBB4_767
.LBB4_765:                              ;   in Loop: Header=BB4_714 Depth=1
	s_branch .LBB4_768
.LBB4_766:                              ;   in Loop: Header=BB4_714 Depth=1
	v_mov_b32_e32 v22, 0
	v_mov_b32_e32 v23, 0
.LBB4_767:                              ;   in Loop: Header=BB4_714 Depth=1
	s_cbranch_execnz .LBB4_769
.LBB4_768:                              ;   in Loop: Header=BB4_714 Depth=1
	global_load_dwordx2 v[22:23], v28, s[4:5]
.LBB4_769:                              ;   in Loop: Header=BB4_714 Depth=1
	v_readfirstlane_b32 s4, v50
	s_waitcnt vmcnt(0)
	v_mov_b32_e32 v4, 0
	v_mov_b32_e32 v5, 0
	v_cmp_eq_u32_e64 s[4:5], s4, v50
	s_and_saveexec_b64 s[20:21], s[4:5]
	s_cbranch_execz .LBB4_775
; %bb.770:                              ;   in Loop: Header=BB4_714 Depth=1
	global_load_dwordx2 v[26:27], v28, s[36:37] offset:24 glc
	s_waitcnt vmcnt(0)
	buffer_wbinvl1_vol
	global_load_dwordx2 v[4:5], v28, s[36:37] offset:40
	global_load_dwordx2 v[8:9], v28, s[36:37]
	s_waitcnt vmcnt(1)
	v_and_b32_e32 v4, v4, v26
	v_and_b32_e32 v5, v5, v27
	v_mul_lo_u32 v5, v5, 24
	v_mul_hi_u32 v24, v4, 24
	v_mul_lo_u32 v4, v4, 24
	v_add_u32_e32 v5, v24, v5
	s_waitcnt vmcnt(0)
	v_add_co_u32_e32 v4, vcc, v8, v4
	v_addc_co_u32_e32 v5, vcc, v9, v5, vcc
	global_load_dwordx2 v[24:25], v[4:5], off glc
	s_waitcnt vmcnt(0)
	global_atomic_cmpswap_x2 v[4:5], v28, v[24:27], s[36:37] offset:24 glc
	s_waitcnt vmcnt(0)
	buffer_wbinvl1_vol
	v_cmp_ne_u64_e32 vcc, v[4:5], v[26:27]
	s_and_saveexec_b64 s[22:23], vcc
	s_cbranch_execz .LBB4_774
; %bb.771:                              ;   in Loop: Header=BB4_714 Depth=1
	s_mov_b64 s[24:25], 0
.LBB4_772:                              ;   Parent Loop BB4_714 Depth=1
                                        ; =>  This Inner Loop Header: Depth=2
	s_sleep 1
	global_load_dwordx2 v[8:9], v28, s[36:37] offset:40
	global_load_dwordx2 v[24:25], v28, s[36:37]
	v_mov_b32_e32 v27, v5
	v_mov_b32_e32 v26, v4
	s_waitcnt vmcnt(1)
	v_and_b32_e32 v4, v8, v26
	s_waitcnt vmcnt(0)
	v_mad_u64_u32 v[4:5], s[26:27], v4, 24, v[24:25]
	v_and_b32_e32 v8, v9, v27
	v_mad_u64_u32 v[8:9], s[26:27], v8, 24, v[5:6]
	v_mov_b32_e32 v5, v8
	global_load_dwordx2 v[24:25], v[4:5], off glc
	s_waitcnt vmcnt(0)
	global_atomic_cmpswap_x2 v[4:5], v28, v[24:27], s[36:37] offset:24 glc
	s_waitcnt vmcnt(0)
	buffer_wbinvl1_vol
	v_cmp_eq_u64_e32 vcc, v[4:5], v[26:27]
	s_or_b64 s[24:25], vcc, s[24:25]
	s_andn2_b64 exec, exec, s[24:25]
	s_cbranch_execnz .LBB4_772
; %bb.773:                              ;   in Loop: Header=BB4_714 Depth=1
	s_or_b64 exec, exec, s[24:25]
.LBB4_774:                              ;   in Loop: Header=BB4_714 Depth=1
	s_or_b64 exec, exec, s[22:23]
.LBB4_775:                              ;   in Loop: Header=BB4_714 Depth=1
	s_or_b64 exec, exec, s[20:21]
	global_load_dwordx2 v[8:9], v28, s[36:37] offset:40
	global_load_dwordx4 v[24:27], v28, s[36:37]
	v_readfirstlane_b32 s20, v4
	v_readfirstlane_b32 s21, v5
	s_mov_b64 s[22:23], exec
	s_waitcnt vmcnt(1)
	v_readfirstlane_b32 s24, v8
	v_readfirstlane_b32 s25, v9
	s_and_b64 s[24:25], s[20:21], s[24:25]
	s_mul_i32 s15, s25, 24
	s_mul_hi_u32 s26, s24, 24
	s_mul_i32 s27, s24, 24
	s_add_i32 s15, s26, s15
	v_mov_b32_e32 v4, s15
	s_waitcnt vmcnt(0)
	v_add_co_u32_e32 v29, vcc, s27, v24
	v_addc_co_u32_e32 v30, vcc, v25, v4, vcc
	s_and_saveexec_b64 s[26:27], s[4:5]
	s_cbranch_execz .LBB4_777
; %bb.776:                              ;   in Loop: Header=BB4_714 Depth=1
	v_mov_b32_e32 v4, s22
	v_mov_b32_e32 v5, s23
	global_store_dwordx4 v[29:30], v[4:7], off offset:8
.LBB4_777:                              ;   in Loop: Header=BB4_714 Depth=1
	s_or_b64 exec, exec, s[26:27]
	s_lshl_b64 s[22:23], s[24:25], 12
	v_mov_b32_e32 v4, s23
	v_add_co_u32_e32 v26, vcc, s22, v26
	v_addc_co_u32_e32 v32, vcc, v27, v4, vcc
	v_cmp_gt_u64_e64 vcc, s[16:17], 56
	v_or_b32_e32 v5, v2, v31
	s_lshl_b32 s15, s18, 2
	v_cndmask_b32_e32 v2, v5, v2, vcc
	s_add_i32 s15, s15, 28
	v_or_b32_e32 v4, 0, v3
	s_and_b32 s15, s15, 0x1e0
	v_and_b32_e32 v2, 0xffffff1f, v2
	v_cndmask_b32_e32 v9, v4, v3, vcc
	v_or_b32_e32 v8, s15, v2
	v_readfirstlane_b32 s22, v26
	v_readfirstlane_b32 s23, v32
	s_nop 4
	global_store_dwordx4 v39, v[8:11], s[22:23]
	global_store_dwordx4 v39, v[12:15], s[22:23] offset:16
	global_store_dwordx4 v39, v[16:19], s[22:23] offset:32
	;; [unrolled: 1-line block ×3, first 2 shown]
	s_and_saveexec_b64 s[22:23], s[4:5]
	s_cbranch_execz .LBB4_785
; %bb.778:                              ;   in Loop: Header=BB4_714 Depth=1
	global_load_dwordx2 v[12:13], v28, s[36:37] offset:32 glc
	global_load_dwordx2 v[2:3], v28, s[36:37] offset:40
	v_mov_b32_e32 v10, s20
	v_mov_b32_e32 v11, s21
	s_waitcnt vmcnt(0)
	v_readfirstlane_b32 s24, v2
	v_readfirstlane_b32 s25, v3
	s_and_b64 s[24:25], s[24:25], s[20:21]
	s_mul_i32 s15, s25, 24
	s_mul_hi_u32 s25, s24, 24
	s_mul_i32 s24, s24, 24
	s_add_i32 s15, s25, s15
	v_mov_b32_e32 v2, s15
	v_add_co_u32_e32 v8, vcc, s24, v24
	v_addc_co_u32_e32 v9, vcc, v25, v2, vcc
	global_store_dwordx2 v[8:9], v[12:13], off
	s_waitcnt vmcnt(0)
	global_atomic_cmpswap_x2 v[4:5], v28, v[10:13], s[36:37] offset:32 glc
	s_waitcnt vmcnt(0)
	v_cmp_ne_u64_e32 vcc, v[4:5], v[12:13]
	s_and_saveexec_b64 s[24:25], vcc
	s_cbranch_execz .LBB4_781
; %bb.779:                              ;   in Loop: Header=BB4_714 Depth=1
	s_mov_b64 s[26:27], 0
.LBB4_780:                              ;   Parent Loop BB4_714 Depth=1
                                        ; =>  This Inner Loop Header: Depth=2
	s_sleep 1
	global_store_dwordx2 v[8:9], v[4:5], off
	v_mov_b32_e32 v2, s20
	v_mov_b32_e32 v3, s21
	s_waitcnt vmcnt(0)
	global_atomic_cmpswap_x2 v[2:3], v28, v[2:5], s[36:37] offset:32 glc
	s_waitcnt vmcnt(0)
	v_cmp_eq_u64_e32 vcc, v[2:3], v[4:5]
	v_mov_b32_e32 v5, v3
	s_or_b64 s[26:27], vcc, s[26:27]
	v_mov_b32_e32 v4, v2
	s_andn2_b64 exec, exec, s[26:27]
	s_cbranch_execnz .LBB4_780
.LBB4_781:                              ;   in Loop: Header=BB4_714 Depth=1
	s_or_b64 exec, exec, s[24:25]
	global_load_dwordx2 v[2:3], v28, s[36:37] offset:16
	s_mov_b64 s[26:27], exec
	v_mbcnt_lo_u32_b32 v4, s26, 0
	v_mbcnt_hi_u32_b32 v4, s27, v4
	v_cmp_eq_u32_e32 vcc, 0, v4
	s_and_saveexec_b64 s[24:25], vcc
	s_cbranch_execz .LBB4_783
; %bb.782:                              ;   in Loop: Header=BB4_714 Depth=1
	s_bcnt1_i32_b64 s15, s[26:27]
	v_mov_b32_e32 v27, s15
	s_waitcnt vmcnt(0)
	global_atomic_add_x2 v[2:3], v[27:28], off offset:8
.LBB4_783:                              ;   in Loop: Header=BB4_714 Depth=1
	s_or_b64 exec, exec, s[24:25]
	s_waitcnt vmcnt(0)
	global_load_dwordx2 v[4:5], v[2:3], off offset:16
	s_waitcnt vmcnt(0)
	v_cmp_eq_u64_e32 vcc, 0, v[4:5]
	s_cbranch_vccnz .LBB4_785
; %bb.784:                              ;   in Loop: Header=BB4_714 Depth=1
	global_load_dword v27, v[2:3], off offset:24
	s_waitcnt vmcnt(0)
	v_and_b32_e32 v2, 0xffffff, v27
	v_readfirstlane_b32 m0, v2
	global_store_dwordx2 v[4:5], v[27:28], off
	s_sendmsg sendmsg(MSG_INTERRUPT)
.LBB4_785:                              ;   in Loop: Header=BB4_714 Depth=1
	s_or_b64 exec, exec, s[22:23]
	v_add_co_u32_e32 v2, vcc, v26, v39
	v_addc_co_u32_e32 v3, vcc, 0, v32, vcc
	s_branch .LBB4_789
.LBB4_786:                              ;   in Loop: Header=BB4_789 Depth=2
	s_or_b64 exec, exec, s[22:23]
	v_readfirstlane_b32 s15, v4
	s_cmp_eq_u32 s15, 0
	s_cbranch_scc1 .LBB4_788
; %bb.787:                              ;   in Loop: Header=BB4_789 Depth=2
	s_sleep 1
	s_cbranch_execnz .LBB4_789
	s_branch .LBB4_791
.LBB4_788:                              ;   in Loop: Header=BB4_714 Depth=1
	s_branch .LBB4_791
.LBB4_789:                              ;   Parent Loop BB4_714 Depth=1
                                        ; =>  This Inner Loop Header: Depth=2
	v_mov_b32_e32 v4, 1
	s_and_saveexec_b64 s[22:23], s[4:5]
	s_cbranch_execz .LBB4_786
; %bb.790:                              ;   in Loop: Header=BB4_789 Depth=2
	global_load_dword v4, v[29:30], off offset:20 glc
	s_waitcnt vmcnt(0)
	buffer_wbinvl1_vol
	v_and_b32_e32 v4, 1, v4
	s_branch .LBB4_786
.LBB4_791:                              ;   in Loop: Header=BB4_714 Depth=1
	global_load_dwordx4 v[2:5], v[2:3], off
	s_and_saveexec_b64 s[22:23], s[4:5]
	s_cbranch_execz .LBB4_713
; %bb.792:                              ;   in Loop: Header=BB4_714 Depth=1
	global_load_dwordx2 v[4:5], v28, s[36:37] offset:40
	global_load_dwordx2 v[12:13], v28, s[36:37] offset:24 glc
	global_load_dwordx2 v[14:15], v28, s[36:37]
	v_mov_b32_e32 v9, s21
	s_waitcnt vmcnt(2)
	v_add_co_u32_e32 v10, vcc, 1, v4
	v_addc_co_u32_e32 v11, vcc, 0, v5, vcc
	v_add_co_u32_e32 v8, vcc, s20, v10
	v_addc_co_u32_e32 v9, vcc, v11, v9, vcc
	v_cmp_eq_u64_e32 vcc, 0, v[8:9]
	v_cndmask_b32_e32 v9, v9, v11, vcc
	v_cndmask_b32_e32 v8, v8, v10, vcc
	v_and_b32_e32 v5, v9, v5
	v_and_b32_e32 v4, v8, v4
	v_mul_lo_u32 v5, v5, 24
	v_mul_hi_u32 v11, v4, 24
	v_mul_lo_u32 v4, v4, 24
	s_waitcnt vmcnt(1)
	v_mov_b32_e32 v10, v12
	v_add_u32_e32 v5, v11, v5
	s_waitcnt vmcnt(0)
	v_add_co_u32_e32 v4, vcc, v14, v4
	v_addc_co_u32_e32 v5, vcc, v15, v5, vcc
	global_store_dwordx2 v[4:5], v[12:13], off
	v_mov_b32_e32 v11, v13
	s_waitcnt vmcnt(0)
	global_atomic_cmpswap_x2 v[10:11], v28, v[8:11], s[36:37] offset:24 glc
	s_waitcnt vmcnt(0)
	v_cmp_ne_u64_e32 vcc, v[10:11], v[12:13]
	s_and_b64 exec, exec, vcc
	s_cbranch_execz .LBB4_713
; %bb.793:                              ;   in Loop: Header=BB4_714 Depth=1
	s_mov_b64 s[4:5], 0
.LBB4_794:                              ;   Parent Loop BB4_714 Depth=1
                                        ; =>  This Inner Loop Header: Depth=2
	s_sleep 1
	global_store_dwordx2 v[4:5], v[10:11], off
	s_waitcnt vmcnt(0)
	global_atomic_cmpswap_x2 v[12:13], v28, v[8:11], s[36:37] offset:24 glc
	s_waitcnt vmcnt(0)
	v_cmp_eq_u64_e32 vcc, v[12:13], v[10:11]
	v_mov_b32_e32 v10, v12
	s_or_b64 s[4:5], vcc, s[4:5]
	v_mov_b32_e32 v11, v13
	s_andn2_b64 exec, exec, s[4:5]
	s_cbranch_execnz .LBB4_794
	s_branch .LBB4_713
.LBB4_795:
	s_branch .LBB4_823
.LBB4_796:
                                        ; implicit-def: $vgpr2_vgpr3
	s_cbranch_execz .LBB4_823
; %bb.797:
	v_readfirstlane_b32 s4, v50
	v_mov_b32_e32 v8, 0
	v_mov_b32_e32 v9, 0
	v_cmp_eq_u32_e64 s[4:5], s4, v50
	s_and_saveexec_b64 s[10:11], s[4:5]
	s_cbranch_execz .LBB4_803
; %bb.798:
	s_waitcnt vmcnt(0)
	v_mov_b32_e32 v2, 0
	global_load_dwordx2 v[5:6], v2, s[36:37] offset:24 glc
	s_waitcnt vmcnt(0)
	buffer_wbinvl1_vol
	global_load_dwordx2 v[3:4], v2, s[36:37] offset:40
	global_load_dwordx2 v[7:8], v2, s[36:37]
	s_waitcnt vmcnt(1)
	v_and_b32_e32 v3, v3, v5
	v_and_b32_e32 v4, v4, v6
	v_mul_lo_u32 v4, v4, 24
	v_mul_hi_u32 v9, v3, 24
	v_mul_lo_u32 v3, v3, 24
	v_add_u32_e32 v4, v9, v4
	s_waitcnt vmcnt(0)
	v_add_co_u32_e32 v3, vcc, v7, v3
	v_addc_co_u32_e32 v4, vcc, v8, v4, vcc
	global_load_dwordx2 v[3:4], v[3:4], off glc
	s_waitcnt vmcnt(0)
	global_atomic_cmpswap_x2 v[8:9], v2, v[3:6], s[36:37] offset:24 glc
	s_waitcnt vmcnt(0)
	buffer_wbinvl1_vol
	v_cmp_ne_u64_e32 vcc, v[8:9], v[5:6]
	s_and_saveexec_b64 s[16:17], vcc
	s_cbranch_execz .LBB4_802
; %bb.799:
	s_mov_b64 s[18:19], 0
.LBB4_800:                              ; =>This Inner Loop Header: Depth=1
	s_sleep 1
	global_load_dwordx2 v[3:4], v2, s[36:37] offset:40
	global_load_dwordx2 v[10:11], v2, s[36:37]
	v_mov_b32_e32 v5, v8
	v_mov_b32_e32 v6, v9
	s_waitcnt vmcnt(1)
	v_and_b32_e32 v3, v3, v5
	s_waitcnt vmcnt(0)
	v_mad_u64_u32 v[7:8], s[20:21], v3, 24, v[10:11]
	v_and_b32_e32 v4, v4, v6
	v_mov_b32_e32 v3, v8
	v_mad_u64_u32 v[3:4], s[20:21], v4, 24, v[3:4]
	v_mov_b32_e32 v8, v3
	global_load_dwordx2 v[3:4], v[7:8], off glc
	s_waitcnt vmcnt(0)
	global_atomic_cmpswap_x2 v[8:9], v2, v[3:6], s[36:37] offset:24 glc
	s_waitcnt vmcnt(0)
	buffer_wbinvl1_vol
	v_cmp_eq_u64_e32 vcc, v[8:9], v[5:6]
	s_or_b64 s[18:19], vcc, s[18:19]
	s_andn2_b64 exec, exec, s[18:19]
	s_cbranch_execnz .LBB4_800
; %bb.801:
	s_or_b64 exec, exec, s[18:19]
.LBB4_802:
	s_or_b64 exec, exec, s[16:17]
.LBB4_803:
	s_or_b64 exec, exec, s[10:11]
	s_waitcnt vmcnt(0)
	v_mov_b32_e32 v2, 0
	global_load_dwordx2 v[10:11], v2, s[36:37] offset:40
	global_load_dwordx4 v[4:7], v2, s[36:37]
	v_readfirstlane_b32 s10, v8
	v_readfirstlane_b32 s11, v9
	s_mov_b64 s[16:17], exec
	s_waitcnt vmcnt(1)
	v_readfirstlane_b32 s18, v10
	v_readfirstlane_b32 s19, v11
	s_and_b64 s[18:19], s[10:11], s[18:19]
	s_mul_i32 s15, s19, 24
	s_mul_hi_u32 s20, s18, 24
	s_mul_i32 s21, s18, 24
	s_add_i32 s15, s20, s15
	v_mov_b32_e32 v3, s15
	s_waitcnt vmcnt(0)
	v_add_co_u32_e32 v8, vcc, s21, v4
	v_addc_co_u32_e32 v9, vcc, v5, v3, vcc
	s_and_saveexec_b64 s[20:21], s[4:5]
	s_cbranch_execz .LBB4_805
; %bb.804:
	v_mov_b32_e32 v10, s16
	v_mov_b32_e32 v11, s17
	;; [unrolled: 1-line block ×4, first 2 shown]
	global_store_dwordx4 v[8:9], v[10:13], off offset:8
.LBB4_805:
	s_or_b64 exec, exec, s[20:21]
	s_lshl_b64 s[16:17], s[18:19], 12
	v_mov_b32_e32 v3, s17
	v_add_co_u32_e32 v10, vcc, s16, v6
	v_addc_co_u32_e32 v11, vcc, v7, v3, vcc
	s_movk_i32 s15, 0xff1f
	v_and_or_b32 v0, v0, s15, 32
	s_mov_b32 s16, 0
	v_mov_b32_e32 v3, v2
	v_readfirstlane_b32 s20, v10
	v_readfirstlane_b32 s21, v11
	v_add_co_u32_e32 v6, vcc, v10, v39
	s_mov_b32 s17, s16
	s_mov_b32 s18, s16
	;; [unrolled: 1-line block ×3, first 2 shown]
	s_nop 0
	global_store_dwordx4 v39, v[0:3], s[20:21]
	v_addc_co_u32_e32 v7, vcc, 0, v11, vcc
	v_mov_b32_e32 v0, s16
	v_mov_b32_e32 v1, s17
	;; [unrolled: 1-line block ×4, first 2 shown]
	global_store_dwordx4 v39, v[0:3], s[20:21] offset:16
	global_store_dwordx4 v39, v[0:3], s[20:21] offset:32
	;; [unrolled: 1-line block ×3, first 2 shown]
	s_and_saveexec_b64 s[16:17], s[4:5]
	s_cbranch_execz .LBB4_813
; %bb.806:
	v_mov_b32_e32 v10, 0
	global_load_dwordx2 v[13:14], v10, s[36:37] offset:32 glc
	global_load_dwordx2 v[0:1], v10, s[36:37] offset:40
	v_mov_b32_e32 v11, s10
	v_mov_b32_e32 v12, s11
	s_waitcnt vmcnt(0)
	v_readfirstlane_b32 s18, v0
	v_readfirstlane_b32 s19, v1
	s_and_b64 s[18:19], s[18:19], s[10:11]
	s_mul_i32 s15, s19, 24
	s_mul_hi_u32 s19, s18, 24
	s_mul_i32 s18, s18, 24
	s_add_i32 s15, s19, s15
	v_mov_b32_e32 v0, s15
	v_add_co_u32_e32 v4, vcc, s18, v4
	v_addc_co_u32_e32 v5, vcc, v5, v0, vcc
	global_store_dwordx2 v[4:5], v[13:14], off
	s_waitcnt vmcnt(0)
	global_atomic_cmpswap_x2 v[2:3], v10, v[11:14], s[36:37] offset:32 glc
	s_waitcnt vmcnt(0)
	v_cmp_ne_u64_e32 vcc, v[2:3], v[13:14]
	s_and_saveexec_b64 s[18:19], vcc
	s_cbranch_execz .LBB4_809
; %bb.807:
	s_mov_b64 s[20:21], 0
.LBB4_808:                              ; =>This Inner Loop Header: Depth=1
	s_sleep 1
	global_store_dwordx2 v[4:5], v[2:3], off
	v_mov_b32_e32 v0, s10
	v_mov_b32_e32 v1, s11
	s_waitcnt vmcnt(0)
	global_atomic_cmpswap_x2 v[0:1], v10, v[0:3], s[36:37] offset:32 glc
	s_waitcnt vmcnt(0)
	v_cmp_eq_u64_e32 vcc, v[0:1], v[2:3]
	v_mov_b32_e32 v3, v1
	s_or_b64 s[20:21], vcc, s[20:21]
	v_mov_b32_e32 v2, v0
	s_andn2_b64 exec, exec, s[20:21]
	s_cbranch_execnz .LBB4_808
.LBB4_809:
	s_or_b64 exec, exec, s[18:19]
	v_mov_b32_e32 v3, 0
	global_load_dwordx2 v[0:1], v3, s[36:37] offset:16
	s_mov_b64 s[18:19], exec
	v_mbcnt_lo_u32_b32 v2, s18, 0
	v_mbcnt_hi_u32_b32 v2, s19, v2
	v_cmp_eq_u32_e32 vcc, 0, v2
	s_and_saveexec_b64 s[20:21], vcc
	s_cbranch_execz .LBB4_811
; %bb.810:
	s_bcnt1_i32_b64 s15, s[18:19]
	v_mov_b32_e32 v2, s15
	s_waitcnt vmcnt(0)
	global_atomic_add_x2 v[0:1], v[2:3], off offset:8
.LBB4_811:
	s_or_b64 exec, exec, s[20:21]
	s_waitcnt vmcnt(0)
	global_load_dwordx2 v[2:3], v[0:1], off offset:16
	s_waitcnt vmcnt(0)
	v_cmp_eq_u64_e32 vcc, 0, v[2:3]
	s_cbranch_vccnz .LBB4_813
; %bb.812:
	global_load_dword v0, v[0:1], off offset:24
	v_mov_b32_e32 v1, 0
	s_waitcnt vmcnt(0)
	global_store_dwordx2 v[2:3], v[0:1], off
	v_and_b32_e32 v0, 0xffffff, v0
	v_readfirstlane_b32 m0, v0
	s_sendmsg sendmsg(MSG_INTERRUPT)
.LBB4_813:
	s_or_b64 exec, exec, s[16:17]
	s_branch .LBB4_817
.LBB4_814:                              ;   in Loop: Header=BB4_817 Depth=1
	s_or_b64 exec, exec, s[16:17]
	v_readfirstlane_b32 s15, v0
	s_cmp_eq_u32 s15, 0
	s_cbranch_scc1 .LBB4_816
; %bb.815:                              ;   in Loop: Header=BB4_817 Depth=1
	s_sleep 1
	s_cbranch_execnz .LBB4_817
	s_branch .LBB4_819
.LBB4_816:
	s_branch .LBB4_819
.LBB4_817:                              ; =>This Inner Loop Header: Depth=1
	v_mov_b32_e32 v0, 1
	s_and_saveexec_b64 s[16:17], s[4:5]
	s_cbranch_execz .LBB4_814
; %bb.818:                              ;   in Loop: Header=BB4_817 Depth=1
	global_load_dword v0, v[8:9], off offset:20 glc
	s_waitcnt vmcnt(0)
	buffer_wbinvl1_vol
	v_and_b32_e32 v0, 1, v0
	s_branch .LBB4_814
.LBB4_819:
	global_load_dwordx2 v[2:3], v[6:7], off
	s_and_saveexec_b64 s[16:17], s[4:5]
	s_cbranch_execz .LBB4_822
; %bb.820:
	v_mov_b32_e32 v8, 0
	global_load_dwordx2 v[0:1], v8, s[36:37] offset:40
	global_load_dwordx2 v[9:10], v8, s[36:37] offset:24 glc
	global_load_dwordx2 v[11:12], v8, s[36:37]
	v_mov_b32_e32 v5, s11
	s_mov_b64 s[4:5], 0
	s_waitcnt vmcnt(2)
	v_add_co_u32_e32 v6, vcc, 1, v0
	v_addc_co_u32_e32 v7, vcc, 0, v1, vcc
	v_add_co_u32_e32 v4, vcc, s10, v6
	v_addc_co_u32_e32 v5, vcc, v7, v5, vcc
	v_cmp_eq_u64_e32 vcc, 0, v[4:5]
	v_cndmask_b32_e32 v5, v5, v7, vcc
	v_cndmask_b32_e32 v4, v4, v6, vcc
	v_and_b32_e32 v1, v5, v1
	v_and_b32_e32 v0, v4, v0
	v_mul_lo_u32 v1, v1, 24
	v_mul_hi_u32 v7, v0, 24
	v_mul_lo_u32 v0, v0, 24
	s_waitcnt vmcnt(1)
	v_mov_b32_e32 v6, v9
	v_add_u32_e32 v1, v7, v1
	s_waitcnt vmcnt(0)
	v_add_co_u32_e32 v0, vcc, v11, v0
	v_addc_co_u32_e32 v1, vcc, v12, v1, vcc
	global_store_dwordx2 v[0:1], v[9:10], off
	v_mov_b32_e32 v7, v10
	s_waitcnt vmcnt(0)
	global_atomic_cmpswap_x2 v[6:7], v8, v[4:7], s[36:37] offset:24 glc
	s_waitcnt vmcnt(0)
	v_cmp_ne_u64_e32 vcc, v[6:7], v[9:10]
	s_and_b64 exec, exec, vcc
	s_cbranch_execz .LBB4_822
.LBB4_821:                              ; =>This Inner Loop Header: Depth=1
	s_sleep 1
	global_store_dwordx2 v[0:1], v[6:7], off
	s_waitcnt vmcnt(0)
	global_atomic_cmpswap_x2 v[9:10], v8, v[4:7], s[36:37] offset:24 glc
	s_waitcnt vmcnt(0)
	v_cmp_eq_u64_e32 vcc, v[9:10], v[6:7]
	v_mov_b32_e32 v6, v9
	s_or_b64 s[4:5], vcc, s[4:5]
	v_mov_b32_e32 v7, v10
	s_andn2_b64 exec, exec, s[4:5]
	s_cbranch_execnz .LBB4_821
.LBB4_822:
	s_or_b64 exec, exec, s[16:17]
.LBB4_823:
	v_readfirstlane_b32 s4, v50
	s_waitcnt vmcnt(0)
	v_mov_b32_e32 v0, 0
	v_mov_b32_e32 v1, 0
	v_cmp_eq_u32_e64 s[4:5], s4, v50
	s_and_saveexec_b64 s[10:11], s[4:5]
	s_cbranch_execz .LBB4_829
; %bb.824:
	v_mov_b32_e32 v4, 0
	global_load_dwordx2 v[7:8], v4, s[36:37] offset:24 glc
	s_waitcnt vmcnt(0)
	buffer_wbinvl1_vol
	global_load_dwordx2 v[0:1], v4, s[36:37] offset:40
	global_load_dwordx2 v[5:6], v4, s[36:37]
	s_waitcnt vmcnt(1)
	v_and_b32_e32 v0, v0, v7
	v_and_b32_e32 v1, v1, v8
	v_mul_lo_u32 v1, v1, 24
	v_mul_hi_u32 v9, v0, 24
	v_mul_lo_u32 v0, v0, 24
	v_add_u32_e32 v1, v9, v1
	s_waitcnt vmcnt(0)
	v_add_co_u32_e32 v0, vcc, v5, v0
	v_addc_co_u32_e32 v1, vcc, v6, v1, vcc
	global_load_dwordx2 v[5:6], v[0:1], off glc
	s_waitcnt vmcnt(0)
	global_atomic_cmpswap_x2 v[0:1], v4, v[5:8], s[36:37] offset:24 glc
	s_waitcnt vmcnt(0)
	buffer_wbinvl1_vol
	v_cmp_ne_u64_e32 vcc, v[0:1], v[7:8]
	s_and_saveexec_b64 s[16:17], vcc
	s_cbranch_execz .LBB4_828
; %bb.825:
	s_mov_b64 s[18:19], 0
.LBB4_826:                              ; =>This Inner Loop Header: Depth=1
	s_sleep 1
	global_load_dwordx2 v[5:6], v4, s[36:37] offset:40
	global_load_dwordx2 v[9:10], v4, s[36:37]
	v_mov_b32_e32 v8, v1
	v_mov_b32_e32 v7, v0
	s_waitcnt vmcnt(1)
	v_and_b32_e32 v0, v5, v7
	s_waitcnt vmcnt(0)
	v_mad_u64_u32 v[0:1], s[20:21], v0, 24, v[9:10]
	v_and_b32_e32 v5, v6, v8
	v_mad_u64_u32 v[5:6], s[20:21], v5, 24, v[1:2]
	v_mov_b32_e32 v1, v5
	global_load_dwordx2 v[5:6], v[0:1], off glc
	s_waitcnt vmcnt(0)
	global_atomic_cmpswap_x2 v[0:1], v4, v[5:8], s[36:37] offset:24 glc
	s_waitcnt vmcnt(0)
	buffer_wbinvl1_vol
	v_cmp_eq_u64_e32 vcc, v[0:1], v[7:8]
	s_or_b64 s[18:19], vcc, s[18:19]
	s_andn2_b64 exec, exec, s[18:19]
	s_cbranch_execnz .LBB4_826
; %bb.827:
	s_or_b64 exec, exec, s[18:19]
.LBB4_828:
	s_or_b64 exec, exec, s[16:17]
.LBB4_829:
	s_or_b64 exec, exec, s[10:11]
	v_mov_b32_e32 v5, 0
	global_load_dwordx2 v[10:11], v5, s[36:37] offset:40
	global_load_dwordx4 v[6:9], v5, s[36:37]
	v_readfirstlane_b32 s10, v0
	v_readfirstlane_b32 s11, v1
	s_mov_b64 s[16:17], exec
	s_waitcnt vmcnt(1)
	v_readfirstlane_b32 s18, v10
	v_readfirstlane_b32 s19, v11
	s_and_b64 s[18:19], s[10:11], s[18:19]
	s_mul_i32 s15, s19, 24
	s_mul_hi_u32 s20, s18, 24
	s_mul_i32 s21, s18, 24
	s_add_i32 s15, s20, s15
	v_mov_b32_e32 v0, s15
	s_waitcnt vmcnt(0)
	v_add_co_u32_e32 v10, vcc, s21, v6
	v_addc_co_u32_e32 v11, vcc, v7, v0, vcc
	s_and_saveexec_b64 s[20:21], s[4:5]
	s_cbranch_execz .LBB4_831
; %bb.830:
	v_mov_b32_e32 v12, s16
	v_mov_b32_e32 v13, s17
	;; [unrolled: 1-line block ×4, first 2 shown]
	global_store_dwordx4 v[10:11], v[12:15], off offset:8
.LBB4_831:
	s_or_b64 exec, exec, s[20:21]
	s_lshl_b64 s[16:17], s[18:19], 12
	v_mov_b32_e32 v0, s17
	v_add_co_u32_e32 v1, vcc, s16, v8
	v_addc_co_u32_e32 v0, vcc, v9, v0, vcc
	s_movk_i32 s15, 0xff1d
	v_and_or_b32 v2, v2, s15, 34
	s_mov_b32 s16, 0
	v_mov_b32_e32 v4, 58
	v_readfirstlane_b32 s20, v1
	v_readfirstlane_b32 s21, v0
	s_mov_b32 s17, s16
	s_mov_b32 s18, s16
	;; [unrolled: 1-line block ×3, first 2 shown]
	s_nop 1
	global_store_dwordx4 v39, v[2:5], s[20:21]
	v_mov_b32_e32 v0, s16
	v_mov_b32_e32 v1, s17
	;; [unrolled: 1-line block ×4, first 2 shown]
	global_store_dwordx4 v39, v[0:3], s[20:21] offset:16
	global_store_dwordx4 v39, v[0:3], s[20:21] offset:32
	;; [unrolled: 1-line block ×3, first 2 shown]
	s_and_saveexec_b64 s[16:17], s[4:5]
	s_cbranch_execz .LBB4_839
; %bb.832:
	v_mov_b32_e32 v8, 0
	global_load_dwordx2 v[14:15], v8, s[36:37] offset:32 glc
	global_load_dwordx2 v[0:1], v8, s[36:37] offset:40
	v_mov_b32_e32 v12, s10
	v_mov_b32_e32 v13, s11
	s_waitcnt vmcnt(0)
	v_readfirstlane_b32 s18, v0
	v_readfirstlane_b32 s19, v1
	s_and_b64 s[18:19], s[18:19], s[10:11]
	s_mul_i32 s15, s19, 24
	s_mul_hi_u32 s19, s18, 24
	s_mul_i32 s18, s18, 24
	s_add_i32 s15, s19, s15
	v_mov_b32_e32 v0, s15
	v_add_co_u32_e32 v4, vcc, s18, v6
	v_addc_co_u32_e32 v5, vcc, v7, v0, vcc
	global_store_dwordx2 v[4:5], v[14:15], off
	s_waitcnt vmcnt(0)
	global_atomic_cmpswap_x2 v[2:3], v8, v[12:15], s[36:37] offset:32 glc
	s_waitcnt vmcnt(0)
	v_cmp_ne_u64_e32 vcc, v[2:3], v[14:15]
	s_and_saveexec_b64 s[18:19], vcc
	s_cbranch_execz .LBB4_835
; %bb.833:
	s_mov_b64 s[20:21], 0
.LBB4_834:                              ; =>This Inner Loop Header: Depth=1
	s_sleep 1
	global_store_dwordx2 v[4:5], v[2:3], off
	v_mov_b32_e32 v0, s10
	v_mov_b32_e32 v1, s11
	s_waitcnt vmcnt(0)
	global_atomic_cmpswap_x2 v[0:1], v8, v[0:3], s[36:37] offset:32 glc
	s_waitcnt vmcnt(0)
	v_cmp_eq_u64_e32 vcc, v[0:1], v[2:3]
	v_mov_b32_e32 v3, v1
	s_or_b64 s[20:21], vcc, s[20:21]
	v_mov_b32_e32 v2, v0
	s_andn2_b64 exec, exec, s[20:21]
	s_cbranch_execnz .LBB4_834
.LBB4_835:
	s_or_b64 exec, exec, s[18:19]
	v_mov_b32_e32 v3, 0
	global_load_dwordx2 v[0:1], v3, s[36:37] offset:16
	s_mov_b64 s[18:19], exec
	v_mbcnt_lo_u32_b32 v2, s18, 0
	v_mbcnt_hi_u32_b32 v2, s19, v2
	v_cmp_eq_u32_e32 vcc, 0, v2
	s_and_saveexec_b64 s[20:21], vcc
	s_cbranch_execz .LBB4_837
; %bb.836:
	s_bcnt1_i32_b64 s15, s[18:19]
	v_mov_b32_e32 v2, s15
	s_waitcnt vmcnt(0)
	global_atomic_add_x2 v[0:1], v[2:3], off offset:8
.LBB4_837:
	s_or_b64 exec, exec, s[20:21]
	s_waitcnt vmcnt(0)
	global_load_dwordx2 v[2:3], v[0:1], off offset:16
	s_waitcnt vmcnt(0)
	v_cmp_eq_u64_e32 vcc, 0, v[2:3]
	s_cbranch_vccnz .LBB4_839
; %bb.838:
	global_load_dword v0, v[0:1], off offset:24
	v_mov_b32_e32 v1, 0
	s_waitcnt vmcnt(0)
	global_store_dwordx2 v[2:3], v[0:1], off
	v_and_b32_e32 v0, 0xffffff, v0
	v_readfirstlane_b32 m0, v0
	s_sendmsg sendmsg(MSG_INTERRUPT)
.LBB4_839:
	s_or_b64 exec, exec, s[16:17]
	s_branch .LBB4_843
.LBB4_840:                              ;   in Loop: Header=BB4_843 Depth=1
	s_or_b64 exec, exec, s[16:17]
	v_readfirstlane_b32 s15, v0
	s_cmp_eq_u32 s15, 0
	s_cbranch_scc1 .LBB4_842
; %bb.841:                              ;   in Loop: Header=BB4_843 Depth=1
	s_sleep 1
	s_cbranch_execnz .LBB4_843
	s_branch .LBB4_845
.LBB4_842:
	s_branch .LBB4_845
.LBB4_843:                              ; =>This Inner Loop Header: Depth=1
	v_mov_b32_e32 v0, 1
	s_and_saveexec_b64 s[16:17], s[4:5]
	s_cbranch_execz .LBB4_840
; %bb.844:                              ;   in Loop: Header=BB4_843 Depth=1
	global_load_dword v0, v[10:11], off offset:20 glc
	s_waitcnt vmcnt(0)
	buffer_wbinvl1_vol
	v_and_b32_e32 v0, 1, v0
	s_branch .LBB4_840
.LBB4_845:
	s_and_saveexec_b64 s[16:17], s[4:5]
	s_cbranch_execz .LBB4_848
; %bb.846:
	v_mov_b32_e32 v6, 0
	global_load_dwordx2 v[2:3], v6, s[36:37] offset:40
	global_load_dwordx2 v[7:8], v6, s[36:37] offset:24 glc
	global_load_dwordx2 v[4:5], v6, s[36:37]
	v_mov_b32_e32 v1, s11
	s_mov_b64 s[4:5], 0
	s_waitcnt vmcnt(2)
	v_add_co_u32_e32 v9, vcc, 1, v2
	v_addc_co_u32_e32 v10, vcc, 0, v3, vcc
	v_add_co_u32_e32 v0, vcc, s10, v9
	v_addc_co_u32_e32 v1, vcc, v10, v1, vcc
	v_cmp_eq_u64_e32 vcc, 0, v[0:1]
	v_cndmask_b32_e32 v1, v1, v10, vcc
	v_cndmask_b32_e32 v0, v0, v9, vcc
	v_and_b32_e32 v3, v1, v3
	v_and_b32_e32 v2, v0, v2
	v_mul_lo_u32 v3, v3, 24
	v_mul_hi_u32 v9, v2, 24
	v_mul_lo_u32 v10, v2, 24
	s_waitcnt vmcnt(1)
	v_mov_b32_e32 v2, v7
	v_add_u32_e32 v3, v9, v3
	s_waitcnt vmcnt(0)
	v_add_co_u32_e32 v4, vcc, v4, v10
	v_addc_co_u32_e32 v5, vcc, v5, v3, vcc
	global_store_dwordx2 v[4:5], v[7:8], off
	v_mov_b32_e32 v3, v8
	s_waitcnt vmcnt(0)
	global_atomic_cmpswap_x2 v[2:3], v6, v[0:3], s[36:37] offset:24 glc
	s_waitcnt vmcnt(0)
	v_cmp_ne_u64_e32 vcc, v[2:3], v[7:8]
	s_and_b64 exec, exec, vcc
	s_cbranch_execz .LBB4_848
.LBB4_847:                              ; =>This Inner Loop Header: Depth=1
	s_sleep 1
	global_store_dwordx2 v[4:5], v[2:3], off
	s_waitcnt vmcnt(0)
	global_atomic_cmpswap_x2 v[7:8], v6, v[0:3], s[36:37] offset:24 glc
	s_waitcnt vmcnt(0)
	v_cmp_eq_u64_e32 vcc, v[7:8], v[2:3]
	v_mov_b32_e32 v2, v7
	s_or_b64 s[4:5], vcc, s[4:5]
	v_mov_b32_e32 v3, v8
	s_andn2_b64 exec, exec, s[4:5]
	s_cbranch_execnz .LBB4_847
.LBB4_848:
	s_or_b64 exec, exec, s[16:17]
	v_readfirstlane_b32 s4, v50
	v_mov_b32_e32 v5, 0
	v_mov_b32_e32 v6, 0
	v_cmp_eq_u32_e64 s[4:5], s4, v50
	s_and_saveexec_b64 s[10:11], s[4:5]
	s_cbranch_execz .LBB4_854
; %bb.849:
	v_mov_b32_e32 v0, 0
	global_load_dwordx2 v[3:4], v0, s[36:37] offset:24 glc
	s_waitcnt vmcnt(0)
	buffer_wbinvl1_vol
	global_load_dwordx2 v[1:2], v0, s[36:37] offset:40
	global_load_dwordx2 v[5:6], v0, s[36:37]
	s_waitcnt vmcnt(1)
	v_and_b32_e32 v1, v1, v3
	v_and_b32_e32 v2, v2, v4
	v_mul_lo_u32 v2, v2, 24
	v_mul_hi_u32 v7, v1, 24
	v_mul_lo_u32 v1, v1, 24
	v_add_u32_e32 v2, v7, v2
	s_waitcnt vmcnt(0)
	v_add_co_u32_e32 v1, vcc, v5, v1
	v_addc_co_u32_e32 v2, vcc, v6, v2, vcc
	global_load_dwordx2 v[1:2], v[1:2], off glc
	s_waitcnt vmcnt(0)
	global_atomic_cmpswap_x2 v[5:6], v0, v[1:4], s[36:37] offset:24 glc
	s_waitcnt vmcnt(0)
	buffer_wbinvl1_vol
	v_cmp_ne_u64_e32 vcc, v[5:6], v[3:4]
	s_and_saveexec_b64 s[16:17], vcc
	s_cbranch_execz .LBB4_853
; %bb.850:
	s_mov_b64 s[18:19], 0
.LBB4_851:                              ; =>This Inner Loop Header: Depth=1
	s_sleep 1
	global_load_dwordx2 v[1:2], v0, s[36:37] offset:40
	global_load_dwordx2 v[7:8], v0, s[36:37]
	v_mov_b32_e32 v3, v5
	v_mov_b32_e32 v4, v6
	s_waitcnt vmcnt(1)
	v_and_b32_e32 v1, v1, v3
	s_waitcnt vmcnt(0)
	v_mad_u64_u32 v[5:6], s[20:21], v1, 24, v[7:8]
	v_and_b32_e32 v2, v2, v4
	v_mov_b32_e32 v1, v6
	v_mad_u64_u32 v[1:2], s[20:21], v2, 24, v[1:2]
	v_mov_b32_e32 v6, v1
	global_load_dwordx2 v[1:2], v[5:6], off glc
	s_waitcnt vmcnt(0)
	global_atomic_cmpswap_x2 v[5:6], v0, v[1:4], s[36:37] offset:24 glc
	s_waitcnt vmcnt(0)
	buffer_wbinvl1_vol
	v_cmp_eq_u64_e32 vcc, v[5:6], v[3:4]
	s_or_b64 s[18:19], vcc, s[18:19]
	s_andn2_b64 exec, exec, s[18:19]
	s_cbranch_execnz .LBB4_851
; %bb.852:
	s_or_b64 exec, exec, s[18:19]
.LBB4_853:
	s_or_b64 exec, exec, s[16:17]
.LBB4_854:
	s_or_b64 exec, exec, s[10:11]
	v_mov_b32_e32 v4, 0
	global_load_dwordx2 v[7:8], v4, s[36:37] offset:40
	global_load_dwordx4 v[0:3], v4, s[36:37]
	v_readfirstlane_b32 s10, v5
	v_readfirstlane_b32 s11, v6
	s_mov_b64 s[16:17], exec
	s_waitcnt vmcnt(1)
	v_readfirstlane_b32 s18, v7
	v_readfirstlane_b32 s19, v8
	s_and_b64 s[18:19], s[10:11], s[18:19]
	s_mul_i32 s15, s19, 24
	s_mul_hi_u32 s20, s18, 24
	s_mul_i32 s21, s18, 24
	s_add_i32 s15, s20, s15
	v_mov_b32_e32 v5, s15
	s_waitcnt vmcnt(0)
	v_add_co_u32_e32 v7, vcc, s21, v0
	v_addc_co_u32_e32 v8, vcc, v1, v5, vcc
	s_and_saveexec_b64 s[20:21], s[4:5]
	s_cbranch_execz .LBB4_856
; %bb.855:
	v_mov_b32_e32 v9, s16
	v_mov_b32_e32 v10, s17
	;; [unrolled: 1-line block ×4, first 2 shown]
	global_store_dwordx4 v[7:8], v[9:12], off offset:8
.LBB4_856:
	s_or_b64 exec, exec, s[20:21]
	s_lshl_b64 s[16:17], s[18:19], 12
	v_mov_b32_e32 v5, s17
	v_add_co_u32_e32 v2, vcc, s16, v2
	v_addc_co_u32_e32 v11, vcc, v3, v5, vcc
	s_mov_b32 s16, 0
	v_mov_b32_e32 v3, 33
	v_mov_b32_e32 v5, v4
	;; [unrolled: 1-line block ×3, first 2 shown]
	v_readfirstlane_b32 s20, v2
	v_readfirstlane_b32 s21, v11
	v_add_co_u32_e32 v9, vcc, v2, v39
	s_mov_b32 s17, s16
	s_mov_b32 s18, s16
	;; [unrolled: 1-line block ×3, first 2 shown]
	s_nop 0
	global_store_dwordx4 v39, v[3:6], s[20:21]
	v_mov_b32_e32 v2, s16
	v_addc_co_u32_e32 v10, vcc, 0, v11, vcc
	v_mov_b32_e32 v3, s17
	v_mov_b32_e32 v4, s18
	v_mov_b32_e32 v5, s19
	global_store_dwordx4 v39, v[2:5], s[20:21] offset:16
	global_store_dwordx4 v39, v[2:5], s[20:21] offset:32
	;; [unrolled: 1-line block ×3, first 2 shown]
	s_and_saveexec_b64 s[16:17], s[4:5]
	s_cbranch_execz .LBB4_864
; %bb.857:
	v_mov_b32_e32 v6, 0
	global_load_dwordx2 v[13:14], v6, s[36:37] offset:32 glc
	global_load_dwordx2 v[2:3], v6, s[36:37] offset:40
	v_mov_b32_e32 v11, s10
	v_mov_b32_e32 v12, s11
	s_waitcnt vmcnt(0)
	v_readfirstlane_b32 s18, v2
	v_readfirstlane_b32 s19, v3
	s_and_b64 s[18:19], s[18:19], s[10:11]
	s_mul_i32 s15, s19, 24
	s_mul_hi_u32 s19, s18, 24
	s_mul_i32 s18, s18, 24
	s_add_i32 s15, s19, s15
	v_mov_b32_e32 v2, s15
	v_add_co_u32_e32 v4, vcc, s18, v0
	v_addc_co_u32_e32 v5, vcc, v1, v2, vcc
	global_store_dwordx2 v[4:5], v[13:14], off
	s_waitcnt vmcnt(0)
	global_atomic_cmpswap_x2 v[2:3], v6, v[11:14], s[36:37] offset:32 glc
	s_waitcnt vmcnt(0)
	v_cmp_ne_u64_e32 vcc, v[2:3], v[13:14]
	s_and_saveexec_b64 s[18:19], vcc
	s_cbranch_execz .LBB4_860
; %bb.858:
	s_mov_b64 s[20:21], 0
.LBB4_859:                              ; =>This Inner Loop Header: Depth=1
	s_sleep 1
	global_store_dwordx2 v[4:5], v[2:3], off
	v_mov_b32_e32 v0, s10
	v_mov_b32_e32 v1, s11
	s_waitcnt vmcnt(0)
	global_atomic_cmpswap_x2 v[0:1], v6, v[0:3], s[36:37] offset:32 glc
	s_waitcnt vmcnt(0)
	v_cmp_eq_u64_e32 vcc, v[0:1], v[2:3]
	v_mov_b32_e32 v3, v1
	s_or_b64 s[20:21], vcc, s[20:21]
	v_mov_b32_e32 v2, v0
	s_andn2_b64 exec, exec, s[20:21]
	s_cbranch_execnz .LBB4_859
.LBB4_860:
	s_or_b64 exec, exec, s[18:19]
	v_mov_b32_e32 v3, 0
	global_load_dwordx2 v[0:1], v3, s[36:37] offset:16
	s_mov_b64 s[18:19], exec
	v_mbcnt_lo_u32_b32 v2, s18, 0
	v_mbcnt_hi_u32_b32 v2, s19, v2
	v_cmp_eq_u32_e32 vcc, 0, v2
	s_and_saveexec_b64 s[20:21], vcc
	s_cbranch_execz .LBB4_862
; %bb.861:
	s_bcnt1_i32_b64 s15, s[18:19]
	v_mov_b32_e32 v2, s15
	s_waitcnt vmcnt(0)
	global_atomic_add_x2 v[0:1], v[2:3], off offset:8
.LBB4_862:
	s_or_b64 exec, exec, s[20:21]
	s_waitcnt vmcnt(0)
	global_load_dwordx2 v[2:3], v[0:1], off offset:16
	s_waitcnt vmcnt(0)
	v_cmp_eq_u64_e32 vcc, 0, v[2:3]
	s_cbranch_vccnz .LBB4_864
; %bb.863:
	global_load_dword v0, v[0:1], off offset:24
	v_mov_b32_e32 v1, 0
	s_waitcnt vmcnt(0)
	global_store_dwordx2 v[2:3], v[0:1], off
	v_and_b32_e32 v0, 0xffffff, v0
	v_readfirstlane_b32 m0, v0
	s_sendmsg sendmsg(MSG_INTERRUPT)
.LBB4_864:
	s_or_b64 exec, exec, s[16:17]
	s_branch .LBB4_868
.LBB4_865:                              ;   in Loop: Header=BB4_868 Depth=1
	s_or_b64 exec, exec, s[16:17]
	v_readfirstlane_b32 s15, v0
	s_cmp_eq_u32 s15, 0
	s_cbranch_scc1 .LBB4_867
; %bb.866:                              ;   in Loop: Header=BB4_868 Depth=1
	s_sleep 1
	s_cbranch_execnz .LBB4_868
	s_branch .LBB4_870
.LBB4_867:
	s_branch .LBB4_870
.LBB4_868:                              ; =>This Inner Loop Header: Depth=1
	v_mov_b32_e32 v0, 1
	s_and_saveexec_b64 s[16:17], s[4:5]
	s_cbranch_execz .LBB4_865
; %bb.869:                              ;   in Loop: Header=BB4_868 Depth=1
	global_load_dword v0, v[7:8], off offset:20 glc
	s_waitcnt vmcnt(0)
	buffer_wbinvl1_vol
	v_and_b32_e32 v0, 1, v0
	s_branch .LBB4_865
.LBB4_870:
	global_load_dwordx2 v[0:1], v[9:10], off
	s_and_saveexec_b64 s[16:17], s[4:5]
	s_cbranch_execz .LBB4_873
; %bb.871:
	v_mov_b32_e32 v8, 0
	global_load_dwordx2 v[4:5], v8, s[36:37] offset:40
	global_load_dwordx2 v[9:10], v8, s[36:37] offset:24 glc
	global_load_dwordx2 v[6:7], v8, s[36:37]
	v_mov_b32_e32 v3, s11
	s_mov_b64 s[4:5], 0
	s_waitcnt vmcnt(2)
	v_add_co_u32_e32 v11, vcc, 1, v4
	v_addc_co_u32_e32 v12, vcc, 0, v5, vcc
	v_add_co_u32_e32 v2, vcc, s10, v11
	v_addc_co_u32_e32 v3, vcc, v12, v3, vcc
	v_cmp_eq_u64_e32 vcc, 0, v[2:3]
	v_cndmask_b32_e32 v3, v3, v12, vcc
	v_cndmask_b32_e32 v2, v2, v11, vcc
	v_and_b32_e32 v5, v3, v5
	v_and_b32_e32 v4, v2, v4
	v_mul_lo_u32 v5, v5, 24
	v_mul_hi_u32 v11, v4, 24
	v_mul_lo_u32 v12, v4, 24
	s_waitcnt vmcnt(1)
	v_mov_b32_e32 v4, v9
	v_add_u32_e32 v5, v11, v5
	s_waitcnt vmcnt(0)
	v_add_co_u32_e32 v6, vcc, v6, v12
	v_addc_co_u32_e32 v7, vcc, v7, v5, vcc
	global_store_dwordx2 v[6:7], v[9:10], off
	v_mov_b32_e32 v5, v10
	s_waitcnt vmcnt(0)
	global_atomic_cmpswap_x2 v[4:5], v8, v[2:5], s[36:37] offset:24 glc
	s_waitcnt vmcnt(0)
	v_cmp_ne_u64_e32 vcc, v[4:5], v[9:10]
	s_and_b64 exec, exec, vcc
	s_cbranch_execz .LBB4_873
.LBB4_872:                              ; =>This Inner Loop Header: Depth=1
	s_sleep 1
	global_store_dwordx2 v[6:7], v[4:5], off
	s_waitcnt vmcnt(0)
	global_atomic_cmpswap_x2 v[9:10], v8, v[2:5], s[36:37] offset:24 glc
	s_waitcnt vmcnt(0)
	v_cmp_eq_u64_e32 vcc, v[9:10], v[4:5]
	v_mov_b32_e32 v4, v9
	s_or_b64 s[4:5], vcc, s[4:5]
	v_mov_b32_e32 v5, v10
	s_andn2_b64 exec, exec, s[4:5]
	s_cbranch_execnz .LBB4_872
.LBB4_873:
	s_or_b64 exec, exec, s[16:17]
	s_getpc_b64 s[10:11]
	s_add_u32 s10, s10, .str.7@rel32@lo+4
	s_addc_u32 s11, s11, .str.7@rel32@hi+12
	s_cmp_lg_u64 s[10:11], 0
	s_cbranch_scc0 .LBB4_958
; %bb.874:
	s_waitcnt vmcnt(0)
	v_and_b32_e32 v31, 2, v0
	v_mov_b32_e32 v28, 0
	v_and_b32_e32 v2, -3, v0
	v_mov_b32_e32 v3, v1
	s_mov_b64 s[16:17], 4
	v_mov_b32_e32 v6, 2
	v_mov_b32_e32 v7, 1
	s_branch .LBB4_876
.LBB4_875:                              ;   in Loop: Header=BB4_876 Depth=1
	s_or_b64 exec, exec, s[22:23]
	s_sub_u32 s16, s16, s18
	s_subb_u32 s17, s17, s19
	s_add_u32 s10, s10, s18
	s_addc_u32 s11, s11, s19
	s_cmp_lg_u64 s[16:17], 0
	s_cbranch_scc0 .LBB4_957
.LBB4_876:                              ; =>This Loop Header: Depth=1
                                        ;     Child Loop BB4_879 Depth 2
                                        ;     Child Loop BB4_886 Depth 2
	;; [unrolled: 1-line block ×11, first 2 shown]
	v_cmp_lt_u64_e64 s[4:5], s[16:17], 56
	v_cmp_gt_u64_e64 s[20:21], s[16:17], 7
	s_and_b64 s[4:5], s[4:5], exec
	s_cselect_b32 s19, s17, 0
	s_cselect_b32 s18, s16, 56
	s_and_b64 vcc, exec, s[20:21]
	s_cbranch_vccnz .LBB4_881
; %bb.877:                              ;   in Loop: Header=BB4_876 Depth=1
	v_mov_b32_e32 v10, 0
	s_cmp_eq_u64 s[16:17], 0
	v_mov_b32_e32 v11, 0
	s_mov_b64 s[4:5], 0
	s_cbranch_scc1 .LBB4_880
; %bb.878:                              ;   in Loop: Header=BB4_876 Depth=1
	v_mov_b32_e32 v10, 0
	s_lshl_b64 s[20:21], s[18:19], 3
	s_mov_b64 s[22:23], 0
	v_mov_b32_e32 v11, 0
	s_mov_b64 s[24:25], s[10:11]
.LBB4_879:                              ;   Parent Loop BB4_876 Depth=1
                                        ; =>  This Inner Loop Header: Depth=2
	global_load_ubyte v4, v28, s[24:25]
	s_waitcnt vmcnt(0)
	v_and_b32_e32 v27, 0xffff, v4
	v_lshlrev_b64 v[4:5], s22, v[27:28]
	s_add_u32 s22, s22, 8
	s_addc_u32 s23, s23, 0
	s_add_u32 s24, s24, 1
	s_addc_u32 s25, s25, 0
	v_or_b32_e32 v10, v4, v10
	s_cmp_lg_u32 s20, s22
	v_or_b32_e32 v11, v5, v11
	s_cbranch_scc1 .LBB4_879
.LBB4_880:                              ;   in Loop: Header=BB4_876 Depth=1
	s_mov_b32 s15, 0
	s_andn2_b64 vcc, exec, s[4:5]
	s_mov_b64 s[4:5], s[10:11]
	s_cbranch_vccz .LBB4_882
	s_branch .LBB4_883
.LBB4_881:                              ;   in Loop: Header=BB4_876 Depth=1
                                        ; implicit-def: $vgpr10_vgpr11
                                        ; implicit-def: $sgpr15
	s_mov_b64 s[4:5], s[10:11]
.LBB4_882:                              ;   in Loop: Header=BB4_876 Depth=1
	global_load_dwordx2 v[10:11], v28, s[10:11]
	s_add_i32 s15, s18, -8
	s_add_u32 s4, s10, 8
	s_addc_u32 s5, s11, 0
.LBB4_883:                              ;   in Loop: Header=BB4_876 Depth=1
	s_cmp_gt_u32 s15, 7
	s_cbranch_scc1 .LBB4_887
; %bb.884:                              ;   in Loop: Header=BB4_876 Depth=1
	s_cmp_eq_u32 s15, 0
	s_cbranch_scc1 .LBB4_888
; %bb.885:                              ;   in Loop: Header=BB4_876 Depth=1
	v_mov_b32_e32 v12, 0
	s_mov_b64 s[20:21], 0
	v_mov_b32_e32 v13, 0
	s_mov_b64 s[22:23], 0
.LBB4_886:                              ;   Parent Loop BB4_876 Depth=1
                                        ; =>  This Inner Loop Header: Depth=2
	s_add_u32 s24, s4, s22
	s_addc_u32 s25, s5, s23
	global_load_ubyte v4, v28, s[24:25]
	s_add_u32 s22, s22, 1
	s_addc_u32 s23, s23, 0
	s_waitcnt vmcnt(0)
	v_and_b32_e32 v27, 0xffff, v4
	v_lshlrev_b64 v[4:5], s20, v[27:28]
	s_add_u32 s20, s20, 8
	s_addc_u32 s21, s21, 0
	v_or_b32_e32 v12, v4, v12
	s_cmp_lg_u32 s15, s22
	v_or_b32_e32 v13, v5, v13
	s_cbranch_scc1 .LBB4_886
	s_branch .LBB4_889
.LBB4_887:                              ;   in Loop: Header=BB4_876 Depth=1
                                        ; implicit-def: $vgpr12_vgpr13
                                        ; implicit-def: $sgpr24
	s_branch .LBB4_890
.LBB4_888:                              ;   in Loop: Header=BB4_876 Depth=1
	v_mov_b32_e32 v12, 0
	v_mov_b32_e32 v13, 0
.LBB4_889:                              ;   in Loop: Header=BB4_876 Depth=1
	s_mov_b32 s24, 0
	s_cbranch_execnz .LBB4_891
.LBB4_890:                              ;   in Loop: Header=BB4_876 Depth=1
	global_load_dwordx2 v[12:13], v28, s[4:5]
	s_add_i32 s24, s15, -8
	s_add_u32 s4, s4, 8
	s_addc_u32 s5, s5, 0
.LBB4_891:                              ;   in Loop: Header=BB4_876 Depth=1
	s_cmp_gt_u32 s24, 7
	s_cbranch_scc1 .LBB4_895
; %bb.892:                              ;   in Loop: Header=BB4_876 Depth=1
	s_cmp_eq_u32 s24, 0
	s_cbranch_scc1 .LBB4_896
; %bb.893:                              ;   in Loop: Header=BB4_876 Depth=1
	v_mov_b32_e32 v14, 0
	s_mov_b64 s[20:21], 0
	v_mov_b32_e32 v15, 0
	s_mov_b64 s[22:23], 0
.LBB4_894:                              ;   Parent Loop BB4_876 Depth=1
                                        ; =>  This Inner Loop Header: Depth=2
	s_add_u32 s26, s4, s22
	s_addc_u32 s27, s5, s23
	global_load_ubyte v4, v28, s[26:27]
	s_add_u32 s22, s22, 1
	s_addc_u32 s23, s23, 0
	s_waitcnt vmcnt(0)
	v_and_b32_e32 v27, 0xffff, v4
	v_lshlrev_b64 v[4:5], s20, v[27:28]
	s_add_u32 s20, s20, 8
	s_addc_u32 s21, s21, 0
	v_or_b32_e32 v14, v4, v14
	s_cmp_lg_u32 s24, s22
	v_or_b32_e32 v15, v5, v15
	s_cbranch_scc1 .LBB4_894
	s_branch .LBB4_897
.LBB4_895:                              ;   in Loop: Header=BB4_876 Depth=1
                                        ; implicit-def: $sgpr15
	s_branch .LBB4_898
.LBB4_896:                              ;   in Loop: Header=BB4_876 Depth=1
	v_mov_b32_e32 v14, 0
	v_mov_b32_e32 v15, 0
.LBB4_897:                              ;   in Loop: Header=BB4_876 Depth=1
	s_mov_b32 s15, 0
	s_cbranch_execnz .LBB4_899
.LBB4_898:                              ;   in Loop: Header=BB4_876 Depth=1
	global_load_dwordx2 v[14:15], v28, s[4:5]
	s_add_i32 s15, s24, -8
	s_add_u32 s4, s4, 8
	s_addc_u32 s5, s5, 0
.LBB4_899:                              ;   in Loop: Header=BB4_876 Depth=1
	s_cmp_gt_u32 s15, 7
	s_cbranch_scc1 .LBB4_903
; %bb.900:                              ;   in Loop: Header=BB4_876 Depth=1
	s_cmp_eq_u32 s15, 0
	s_cbranch_scc1 .LBB4_904
; %bb.901:                              ;   in Loop: Header=BB4_876 Depth=1
	v_mov_b32_e32 v16, 0
	s_mov_b64 s[20:21], 0
	v_mov_b32_e32 v17, 0
	s_mov_b64 s[22:23], 0
.LBB4_902:                              ;   Parent Loop BB4_876 Depth=1
                                        ; =>  This Inner Loop Header: Depth=2
	s_add_u32 s24, s4, s22
	s_addc_u32 s25, s5, s23
	global_load_ubyte v4, v28, s[24:25]
	s_add_u32 s22, s22, 1
	s_addc_u32 s23, s23, 0
	s_waitcnt vmcnt(0)
	v_and_b32_e32 v27, 0xffff, v4
	v_lshlrev_b64 v[4:5], s20, v[27:28]
	s_add_u32 s20, s20, 8
	s_addc_u32 s21, s21, 0
	v_or_b32_e32 v16, v4, v16
	s_cmp_lg_u32 s15, s22
	v_or_b32_e32 v17, v5, v17
	s_cbranch_scc1 .LBB4_902
	s_branch .LBB4_905
.LBB4_903:                              ;   in Loop: Header=BB4_876 Depth=1
                                        ; implicit-def: $vgpr16_vgpr17
                                        ; implicit-def: $sgpr24
	s_branch .LBB4_906
.LBB4_904:                              ;   in Loop: Header=BB4_876 Depth=1
	v_mov_b32_e32 v16, 0
	v_mov_b32_e32 v17, 0
.LBB4_905:                              ;   in Loop: Header=BB4_876 Depth=1
	s_mov_b32 s24, 0
	s_cbranch_execnz .LBB4_907
.LBB4_906:                              ;   in Loop: Header=BB4_876 Depth=1
	global_load_dwordx2 v[16:17], v28, s[4:5]
	s_add_i32 s24, s15, -8
	s_add_u32 s4, s4, 8
	s_addc_u32 s5, s5, 0
.LBB4_907:                              ;   in Loop: Header=BB4_876 Depth=1
	s_cmp_gt_u32 s24, 7
	s_cbranch_scc1 .LBB4_911
; %bb.908:                              ;   in Loop: Header=BB4_876 Depth=1
	s_cmp_eq_u32 s24, 0
	s_cbranch_scc1 .LBB4_912
; %bb.909:                              ;   in Loop: Header=BB4_876 Depth=1
	v_mov_b32_e32 v18, 0
	s_mov_b64 s[20:21], 0
	v_mov_b32_e32 v19, 0
	s_mov_b64 s[22:23], 0
.LBB4_910:                              ;   Parent Loop BB4_876 Depth=1
                                        ; =>  This Inner Loop Header: Depth=2
	s_add_u32 s26, s4, s22
	s_addc_u32 s27, s5, s23
	global_load_ubyte v4, v28, s[26:27]
	s_add_u32 s22, s22, 1
	s_addc_u32 s23, s23, 0
	s_waitcnt vmcnt(0)
	v_and_b32_e32 v27, 0xffff, v4
	v_lshlrev_b64 v[4:5], s20, v[27:28]
	s_add_u32 s20, s20, 8
	s_addc_u32 s21, s21, 0
	v_or_b32_e32 v18, v4, v18
	s_cmp_lg_u32 s24, s22
	v_or_b32_e32 v19, v5, v19
	s_cbranch_scc1 .LBB4_910
	s_branch .LBB4_913
.LBB4_911:                              ;   in Loop: Header=BB4_876 Depth=1
                                        ; implicit-def: $sgpr15
	s_branch .LBB4_914
.LBB4_912:                              ;   in Loop: Header=BB4_876 Depth=1
	v_mov_b32_e32 v18, 0
	v_mov_b32_e32 v19, 0
.LBB4_913:                              ;   in Loop: Header=BB4_876 Depth=1
	s_mov_b32 s15, 0
	s_cbranch_execnz .LBB4_915
.LBB4_914:                              ;   in Loop: Header=BB4_876 Depth=1
	global_load_dwordx2 v[18:19], v28, s[4:5]
	s_add_i32 s15, s24, -8
	s_add_u32 s4, s4, 8
	s_addc_u32 s5, s5, 0
.LBB4_915:                              ;   in Loop: Header=BB4_876 Depth=1
	s_cmp_gt_u32 s15, 7
	s_cbranch_scc1 .LBB4_919
; %bb.916:                              ;   in Loop: Header=BB4_876 Depth=1
	s_cmp_eq_u32 s15, 0
	s_cbranch_scc1 .LBB4_920
; %bb.917:                              ;   in Loop: Header=BB4_876 Depth=1
	v_mov_b32_e32 v20, 0
	s_mov_b64 s[20:21], 0
	v_mov_b32_e32 v21, 0
	s_mov_b64 s[22:23], 0
.LBB4_918:                              ;   Parent Loop BB4_876 Depth=1
                                        ; =>  This Inner Loop Header: Depth=2
	s_add_u32 s24, s4, s22
	s_addc_u32 s25, s5, s23
	global_load_ubyte v4, v28, s[24:25]
	s_add_u32 s22, s22, 1
	s_addc_u32 s23, s23, 0
	s_waitcnt vmcnt(0)
	v_and_b32_e32 v27, 0xffff, v4
	v_lshlrev_b64 v[4:5], s20, v[27:28]
	s_add_u32 s20, s20, 8
	s_addc_u32 s21, s21, 0
	v_or_b32_e32 v20, v4, v20
	s_cmp_lg_u32 s15, s22
	v_or_b32_e32 v21, v5, v21
	s_cbranch_scc1 .LBB4_918
	s_branch .LBB4_921
.LBB4_919:                              ;   in Loop: Header=BB4_876 Depth=1
                                        ; implicit-def: $vgpr20_vgpr21
                                        ; implicit-def: $sgpr24
	s_branch .LBB4_922
.LBB4_920:                              ;   in Loop: Header=BB4_876 Depth=1
	v_mov_b32_e32 v20, 0
	v_mov_b32_e32 v21, 0
.LBB4_921:                              ;   in Loop: Header=BB4_876 Depth=1
	s_mov_b32 s24, 0
	s_cbranch_execnz .LBB4_923
.LBB4_922:                              ;   in Loop: Header=BB4_876 Depth=1
	global_load_dwordx2 v[20:21], v28, s[4:5]
	s_add_i32 s24, s15, -8
	s_add_u32 s4, s4, 8
	s_addc_u32 s5, s5, 0
.LBB4_923:                              ;   in Loop: Header=BB4_876 Depth=1
	s_cmp_gt_u32 s24, 7
	s_cbranch_scc1 .LBB4_927
; %bb.924:                              ;   in Loop: Header=BB4_876 Depth=1
	s_cmp_eq_u32 s24, 0
	s_cbranch_scc1 .LBB4_928
; %bb.925:                              ;   in Loop: Header=BB4_876 Depth=1
	v_mov_b32_e32 v22, 0
	s_mov_b64 s[20:21], 0
	v_mov_b32_e32 v23, 0
	s_mov_b64 s[22:23], s[4:5]
.LBB4_926:                              ;   Parent Loop BB4_876 Depth=1
                                        ; =>  This Inner Loop Header: Depth=2
	global_load_ubyte v4, v28, s[22:23]
	s_add_i32 s24, s24, -1
	s_waitcnt vmcnt(0)
	v_and_b32_e32 v27, 0xffff, v4
	v_lshlrev_b64 v[4:5], s20, v[27:28]
	s_add_u32 s20, s20, 8
	s_addc_u32 s21, s21, 0
	s_add_u32 s22, s22, 1
	s_addc_u32 s23, s23, 0
	v_or_b32_e32 v22, v4, v22
	s_cmp_lg_u32 s24, 0
	v_or_b32_e32 v23, v5, v23
	s_cbranch_scc1 .LBB4_926
	s_branch .LBB4_929
.LBB4_927:                              ;   in Loop: Header=BB4_876 Depth=1
	s_branch .LBB4_930
.LBB4_928:                              ;   in Loop: Header=BB4_876 Depth=1
	v_mov_b32_e32 v22, 0
	v_mov_b32_e32 v23, 0
.LBB4_929:                              ;   in Loop: Header=BB4_876 Depth=1
	s_cbranch_execnz .LBB4_931
.LBB4_930:                              ;   in Loop: Header=BB4_876 Depth=1
	global_load_dwordx2 v[22:23], v28, s[4:5]
.LBB4_931:                              ;   in Loop: Header=BB4_876 Depth=1
	v_readfirstlane_b32 s4, v50
	s_waitcnt vmcnt(0)
	v_mov_b32_e32 v4, 0
	v_mov_b32_e32 v5, 0
	v_cmp_eq_u32_e64 s[4:5], s4, v50
	s_and_saveexec_b64 s[20:21], s[4:5]
	s_cbranch_execz .LBB4_937
; %bb.932:                              ;   in Loop: Header=BB4_876 Depth=1
	global_load_dwordx2 v[26:27], v28, s[36:37] offset:24 glc
	s_waitcnt vmcnt(0)
	buffer_wbinvl1_vol
	global_load_dwordx2 v[4:5], v28, s[36:37] offset:40
	global_load_dwordx2 v[8:9], v28, s[36:37]
	s_waitcnt vmcnt(1)
	v_and_b32_e32 v4, v4, v26
	v_and_b32_e32 v5, v5, v27
	v_mul_lo_u32 v5, v5, 24
	v_mul_hi_u32 v24, v4, 24
	v_mul_lo_u32 v4, v4, 24
	v_add_u32_e32 v5, v24, v5
	s_waitcnt vmcnt(0)
	v_add_co_u32_e32 v4, vcc, v8, v4
	v_addc_co_u32_e32 v5, vcc, v9, v5, vcc
	global_load_dwordx2 v[24:25], v[4:5], off glc
	s_waitcnt vmcnt(0)
	global_atomic_cmpswap_x2 v[4:5], v28, v[24:27], s[36:37] offset:24 glc
	s_waitcnt vmcnt(0)
	buffer_wbinvl1_vol
	v_cmp_ne_u64_e32 vcc, v[4:5], v[26:27]
	s_and_saveexec_b64 s[22:23], vcc
	s_cbranch_execz .LBB4_936
; %bb.933:                              ;   in Loop: Header=BB4_876 Depth=1
	s_mov_b64 s[24:25], 0
.LBB4_934:                              ;   Parent Loop BB4_876 Depth=1
                                        ; =>  This Inner Loop Header: Depth=2
	s_sleep 1
	global_load_dwordx2 v[8:9], v28, s[36:37] offset:40
	global_load_dwordx2 v[24:25], v28, s[36:37]
	v_mov_b32_e32 v27, v5
	v_mov_b32_e32 v26, v4
	s_waitcnt vmcnt(1)
	v_and_b32_e32 v4, v8, v26
	s_waitcnt vmcnt(0)
	v_mad_u64_u32 v[4:5], s[26:27], v4, 24, v[24:25]
	v_and_b32_e32 v8, v9, v27
	v_mad_u64_u32 v[8:9], s[26:27], v8, 24, v[5:6]
	v_mov_b32_e32 v5, v8
	global_load_dwordx2 v[24:25], v[4:5], off glc
	s_waitcnt vmcnt(0)
	global_atomic_cmpswap_x2 v[4:5], v28, v[24:27], s[36:37] offset:24 glc
	s_waitcnt vmcnt(0)
	buffer_wbinvl1_vol
	v_cmp_eq_u64_e32 vcc, v[4:5], v[26:27]
	s_or_b64 s[24:25], vcc, s[24:25]
	s_andn2_b64 exec, exec, s[24:25]
	s_cbranch_execnz .LBB4_934
; %bb.935:                              ;   in Loop: Header=BB4_876 Depth=1
	s_or_b64 exec, exec, s[24:25]
.LBB4_936:                              ;   in Loop: Header=BB4_876 Depth=1
	s_or_b64 exec, exec, s[22:23]
.LBB4_937:                              ;   in Loop: Header=BB4_876 Depth=1
	s_or_b64 exec, exec, s[20:21]
	global_load_dwordx2 v[8:9], v28, s[36:37] offset:40
	global_load_dwordx4 v[24:27], v28, s[36:37]
	v_readfirstlane_b32 s20, v4
	v_readfirstlane_b32 s21, v5
	s_mov_b64 s[22:23], exec
	s_waitcnt vmcnt(1)
	v_readfirstlane_b32 s24, v8
	v_readfirstlane_b32 s25, v9
	s_and_b64 s[24:25], s[20:21], s[24:25]
	s_mul_i32 s15, s25, 24
	s_mul_hi_u32 s26, s24, 24
	s_mul_i32 s27, s24, 24
	s_add_i32 s15, s26, s15
	v_mov_b32_e32 v4, s15
	s_waitcnt vmcnt(0)
	v_add_co_u32_e32 v29, vcc, s27, v24
	v_addc_co_u32_e32 v30, vcc, v25, v4, vcc
	s_and_saveexec_b64 s[26:27], s[4:5]
	s_cbranch_execz .LBB4_939
; %bb.938:                              ;   in Loop: Header=BB4_876 Depth=1
	v_mov_b32_e32 v4, s22
	v_mov_b32_e32 v5, s23
	global_store_dwordx4 v[29:30], v[4:7], off offset:8
.LBB4_939:                              ;   in Loop: Header=BB4_876 Depth=1
	s_or_b64 exec, exec, s[26:27]
	s_lshl_b64 s[22:23], s[24:25], 12
	v_mov_b32_e32 v4, s23
	v_add_co_u32_e32 v26, vcc, s22, v26
	v_addc_co_u32_e32 v32, vcc, v27, v4, vcc
	v_cmp_gt_u64_e64 vcc, s[16:17], 56
	v_or_b32_e32 v5, v2, v31
	s_lshl_b32 s15, s18, 2
	v_cndmask_b32_e32 v2, v5, v2, vcc
	s_add_i32 s15, s15, 28
	v_or_b32_e32 v4, 0, v3
	s_and_b32 s15, s15, 0x1e0
	v_and_b32_e32 v2, 0xffffff1f, v2
	v_cndmask_b32_e32 v9, v4, v3, vcc
	v_or_b32_e32 v8, s15, v2
	v_readfirstlane_b32 s22, v26
	v_readfirstlane_b32 s23, v32
	s_nop 4
	global_store_dwordx4 v39, v[8:11], s[22:23]
	global_store_dwordx4 v39, v[12:15], s[22:23] offset:16
	global_store_dwordx4 v39, v[16:19], s[22:23] offset:32
	;; [unrolled: 1-line block ×3, first 2 shown]
	s_and_saveexec_b64 s[22:23], s[4:5]
	s_cbranch_execz .LBB4_947
; %bb.940:                              ;   in Loop: Header=BB4_876 Depth=1
	global_load_dwordx2 v[12:13], v28, s[36:37] offset:32 glc
	global_load_dwordx2 v[2:3], v28, s[36:37] offset:40
	v_mov_b32_e32 v10, s20
	v_mov_b32_e32 v11, s21
	s_waitcnt vmcnt(0)
	v_readfirstlane_b32 s24, v2
	v_readfirstlane_b32 s25, v3
	s_and_b64 s[24:25], s[24:25], s[20:21]
	s_mul_i32 s15, s25, 24
	s_mul_hi_u32 s25, s24, 24
	s_mul_i32 s24, s24, 24
	s_add_i32 s15, s25, s15
	v_mov_b32_e32 v2, s15
	v_add_co_u32_e32 v8, vcc, s24, v24
	v_addc_co_u32_e32 v9, vcc, v25, v2, vcc
	global_store_dwordx2 v[8:9], v[12:13], off
	s_waitcnt vmcnt(0)
	global_atomic_cmpswap_x2 v[4:5], v28, v[10:13], s[36:37] offset:32 glc
	s_waitcnt vmcnt(0)
	v_cmp_ne_u64_e32 vcc, v[4:5], v[12:13]
	s_and_saveexec_b64 s[24:25], vcc
	s_cbranch_execz .LBB4_943
; %bb.941:                              ;   in Loop: Header=BB4_876 Depth=1
	s_mov_b64 s[26:27], 0
.LBB4_942:                              ;   Parent Loop BB4_876 Depth=1
                                        ; =>  This Inner Loop Header: Depth=2
	s_sleep 1
	global_store_dwordx2 v[8:9], v[4:5], off
	v_mov_b32_e32 v2, s20
	v_mov_b32_e32 v3, s21
	s_waitcnt vmcnt(0)
	global_atomic_cmpswap_x2 v[2:3], v28, v[2:5], s[36:37] offset:32 glc
	s_waitcnt vmcnt(0)
	v_cmp_eq_u64_e32 vcc, v[2:3], v[4:5]
	v_mov_b32_e32 v5, v3
	s_or_b64 s[26:27], vcc, s[26:27]
	v_mov_b32_e32 v4, v2
	s_andn2_b64 exec, exec, s[26:27]
	s_cbranch_execnz .LBB4_942
.LBB4_943:                              ;   in Loop: Header=BB4_876 Depth=1
	s_or_b64 exec, exec, s[24:25]
	global_load_dwordx2 v[2:3], v28, s[36:37] offset:16
	s_mov_b64 s[26:27], exec
	v_mbcnt_lo_u32_b32 v4, s26, 0
	v_mbcnt_hi_u32_b32 v4, s27, v4
	v_cmp_eq_u32_e32 vcc, 0, v4
	s_and_saveexec_b64 s[24:25], vcc
	s_cbranch_execz .LBB4_945
; %bb.944:                              ;   in Loop: Header=BB4_876 Depth=1
	s_bcnt1_i32_b64 s15, s[26:27]
	v_mov_b32_e32 v27, s15
	s_waitcnt vmcnt(0)
	global_atomic_add_x2 v[2:3], v[27:28], off offset:8
.LBB4_945:                              ;   in Loop: Header=BB4_876 Depth=1
	s_or_b64 exec, exec, s[24:25]
	s_waitcnt vmcnt(0)
	global_load_dwordx2 v[4:5], v[2:3], off offset:16
	s_waitcnt vmcnt(0)
	v_cmp_eq_u64_e32 vcc, 0, v[4:5]
	s_cbranch_vccnz .LBB4_947
; %bb.946:                              ;   in Loop: Header=BB4_876 Depth=1
	global_load_dword v27, v[2:3], off offset:24
	s_waitcnt vmcnt(0)
	v_and_b32_e32 v2, 0xffffff, v27
	v_readfirstlane_b32 m0, v2
	global_store_dwordx2 v[4:5], v[27:28], off
	s_sendmsg sendmsg(MSG_INTERRUPT)
.LBB4_947:                              ;   in Loop: Header=BB4_876 Depth=1
	s_or_b64 exec, exec, s[22:23]
	v_add_co_u32_e32 v2, vcc, v26, v39
	v_addc_co_u32_e32 v3, vcc, 0, v32, vcc
	s_branch .LBB4_951
.LBB4_948:                              ;   in Loop: Header=BB4_951 Depth=2
	s_or_b64 exec, exec, s[22:23]
	v_readfirstlane_b32 s15, v4
	s_cmp_eq_u32 s15, 0
	s_cbranch_scc1 .LBB4_950
; %bb.949:                              ;   in Loop: Header=BB4_951 Depth=2
	s_sleep 1
	s_cbranch_execnz .LBB4_951
	s_branch .LBB4_953
.LBB4_950:                              ;   in Loop: Header=BB4_876 Depth=1
	s_branch .LBB4_953
.LBB4_951:                              ;   Parent Loop BB4_876 Depth=1
                                        ; =>  This Inner Loop Header: Depth=2
	v_mov_b32_e32 v4, 1
	s_and_saveexec_b64 s[22:23], s[4:5]
	s_cbranch_execz .LBB4_948
; %bb.952:                              ;   in Loop: Header=BB4_951 Depth=2
	global_load_dword v4, v[29:30], off offset:20 glc
	s_waitcnt vmcnt(0)
	buffer_wbinvl1_vol
	v_and_b32_e32 v4, 1, v4
	s_branch .LBB4_948
.LBB4_953:                              ;   in Loop: Header=BB4_876 Depth=1
	global_load_dwordx4 v[2:5], v[2:3], off
	s_and_saveexec_b64 s[22:23], s[4:5]
	s_cbranch_execz .LBB4_875
; %bb.954:                              ;   in Loop: Header=BB4_876 Depth=1
	global_load_dwordx2 v[4:5], v28, s[36:37] offset:40
	global_load_dwordx2 v[12:13], v28, s[36:37] offset:24 glc
	global_load_dwordx2 v[14:15], v28, s[36:37]
	v_mov_b32_e32 v9, s21
	s_waitcnt vmcnt(2)
	v_add_co_u32_e32 v10, vcc, 1, v4
	v_addc_co_u32_e32 v11, vcc, 0, v5, vcc
	v_add_co_u32_e32 v8, vcc, s20, v10
	v_addc_co_u32_e32 v9, vcc, v11, v9, vcc
	v_cmp_eq_u64_e32 vcc, 0, v[8:9]
	v_cndmask_b32_e32 v9, v9, v11, vcc
	v_cndmask_b32_e32 v8, v8, v10, vcc
	v_and_b32_e32 v5, v9, v5
	v_and_b32_e32 v4, v8, v4
	v_mul_lo_u32 v5, v5, 24
	v_mul_hi_u32 v11, v4, 24
	v_mul_lo_u32 v4, v4, 24
	s_waitcnt vmcnt(1)
	v_mov_b32_e32 v10, v12
	v_add_u32_e32 v5, v11, v5
	s_waitcnt vmcnt(0)
	v_add_co_u32_e32 v4, vcc, v14, v4
	v_addc_co_u32_e32 v5, vcc, v15, v5, vcc
	global_store_dwordx2 v[4:5], v[12:13], off
	v_mov_b32_e32 v11, v13
	s_waitcnt vmcnt(0)
	global_atomic_cmpswap_x2 v[10:11], v28, v[8:11], s[36:37] offset:24 glc
	s_waitcnt vmcnt(0)
	v_cmp_ne_u64_e32 vcc, v[10:11], v[12:13]
	s_and_b64 exec, exec, vcc
	s_cbranch_execz .LBB4_875
; %bb.955:                              ;   in Loop: Header=BB4_876 Depth=1
	s_mov_b64 s[4:5], 0
.LBB4_956:                              ;   Parent Loop BB4_876 Depth=1
                                        ; =>  This Inner Loop Header: Depth=2
	s_sleep 1
	global_store_dwordx2 v[4:5], v[10:11], off
	s_waitcnt vmcnt(0)
	global_atomic_cmpswap_x2 v[12:13], v28, v[8:11], s[36:37] offset:24 glc
	s_waitcnt vmcnt(0)
	v_cmp_eq_u64_e32 vcc, v[12:13], v[10:11]
	v_mov_b32_e32 v10, v12
	s_or_b64 s[4:5], vcc, s[4:5]
	v_mov_b32_e32 v11, v13
	s_andn2_b64 exec, exec, s[4:5]
	s_cbranch_execnz .LBB4_956
	s_branch .LBB4_875
.LBB4_957:
	s_branch .LBB4_985
.LBB4_958:
                                        ; implicit-def: $vgpr2_vgpr3
	s_cbranch_execz .LBB4_985
; %bb.959:
	v_readfirstlane_b32 s4, v50
	v_mov_b32_e32 v8, 0
	v_mov_b32_e32 v9, 0
	v_cmp_eq_u32_e64 s[4:5], s4, v50
	s_and_saveexec_b64 s[10:11], s[4:5]
	s_cbranch_execz .LBB4_965
; %bb.960:
	s_waitcnt vmcnt(0)
	v_mov_b32_e32 v2, 0
	global_load_dwordx2 v[5:6], v2, s[36:37] offset:24 glc
	s_waitcnt vmcnt(0)
	buffer_wbinvl1_vol
	global_load_dwordx2 v[3:4], v2, s[36:37] offset:40
	global_load_dwordx2 v[7:8], v2, s[36:37]
	s_waitcnt vmcnt(1)
	v_and_b32_e32 v3, v3, v5
	v_and_b32_e32 v4, v4, v6
	v_mul_lo_u32 v4, v4, 24
	v_mul_hi_u32 v9, v3, 24
	v_mul_lo_u32 v3, v3, 24
	v_add_u32_e32 v4, v9, v4
	s_waitcnt vmcnt(0)
	v_add_co_u32_e32 v3, vcc, v7, v3
	v_addc_co_u32_e32 v4, vcc, v8, v4, vcc
	global_load_dwordx2 v[3:4], v[3:4], off glc
	s_waitcnt vmcnt(0)
	global_atomic_cmpswap_x2 v[8:9], v2, v[3:6], s[36:37] offset:24 glc
	s_waitcnt vmcnt(0)
	buffer_wbinvl1_vol
	v_cmp_ne_u64_e32 vcc, v[8:9], v[5:6]
	s_and_saveexec_b64 s[16:17], vcc
	s_cbranch_execz .LBB4_964
; %bb.961:
	s_mov_b64 s[18:19], 0
.LBB4_962:                              ; =>This Inner Loop Header: Depth=1
	s_sleep 1
	global_load_dwordx2 v[3:4], v2, s[36:37] offset:40
	global_load_dwordx2 v[10:11], v2, s[36:37]
	v_mov_b32_e32 v5, v8
	v_mov_b32_e32 v6, v9
	s_waitcnt vmcnt(1)
	v_and_b32_e32 v3, v3, v5
	s_waitcnt vmcnt(0)
	v_mad_u64_u32 v[7:8], s[20:21], v3, 24, v[10:11]
	v_and_b32_e32 v4, v4, v6
	v_mov_b32_e32 v3, v8
	v_mad_u64_u32 v[3:4], s[20:21], v4, 24, v[3:4]
	v_mov_b32_e32 v8, v3
	global_load_dwordx2 v[3:4], v[7:8], off glc
	s_waitcnt vmcnt(0)
	global_atomic_cmpswap_x2 v[8:9], v2, v[3:6], s[36:37] offset:24 glc
	s_waitcnt vmcnt(0)
	buffer_wbinvl1_vol
	v_cmp_eq_u64_e32 vcc, v[8:9], v[5:6]
	s_or_b64 s[18:19], vcc, s[18:19]
	s_andn2_b64 exec, exec, s[18:19]
	s_cbranch_execnz .LBB4_962
; %bb.963:
	s_or_b64 exec, exec, s[18:19]
.LBB4_964:
	s_or_b64 exec, exec, s[16:17]
.LBB4_965:
	s_or_b64 exec, exec, s[10:11]
	s_waitcnt vmcnt(0)
	v_mov_b32_e32 v2, 0
	global_load_dwordx2 v[10:11], v2, s[36:37] offset:40
	global_load_dwordx4 v[4:7], v2, s[36:37]
	v_readfirstlane_b32 s10, v8
	v_readfirstlane_b32 s11, v9
	s_mov_b64 s[16:17], exec
	s_waitcnt vmcnt(1)
	v_readfirstlane_b32 s18, v10
	v_readfirstlane_b32 s19, v11
	s_and_b64 s[18:19], s[10:11], s[18:19]
	s_mul_i32 s15, s19, 24
	s_mul_hi_u32 s20, s18, 24
	s_mul_i32 s21, s18, 24
	s_add_i32 s15, s20, s15
	v_mov_b32_e32 v3, s15
	s_waitcnt vmcnt(0)
	v_add_co_u32_e32 v8, vcc, s21, v4
	v_addc_co_u32_e32 v9, vcc, v5, v3, vcc
	s_and_saveexec_b64 s[20:21], s[4:5]
	s_cbranch_execz .LBB4_967
; %bb.966:
	v_mov_b32_e32 v10, s16
	v_mov_b32_e32 v11, s17
	;; [unrolled: 1-line block ×4, first 2 shown]
	global_store_dwordx4 v[8:9], v[10:13], off offset:8
.LBB4_967:
	s_or_b64 exec, exec, s[20:21]
	s_lshl_b64 s[16:17], s[18:19], 12
	v_mov_b32_e32 v3, s17
	v_add_co_u32_e32 v10, vcc, s16, v6
	v_addc_co_u32_e32 v11, vcc, v7, v3, vcc
	s_movk_i32 s15, 0xff1f
	v_and_or_b32 v0, v0, s15, 32
	s_mov_b32 s16, 0
	v_mov_b32_e32 v3, v2
	v_readfirstlane_b32 s20, v10
	v_readfirstlane_b32 s21, v11
	v_add_co_u32_e32 v6, vcc, v10, v39
	s_mov_b32 s17, s16
	s_mov_b32 s18, s16
	;; [unrolled: 1-line block ×3, first 2 shown]
	s_nop 0
	global_store_dwordx4 v39, v[0:3], s[20:21]
	v_addc_co_u32_e32 v7, vcc, 0, v11, vcc
	v_mov_b32_e32 v0, s16
	v_mov_b32_e32 v1, s17
	;; [unrolled: 1-line block ×4, first 2 shown]
	global_store_dwordx4 v39, v[0:3], s[20:21] offset:16
	global_store_dwordx4 v39, v[0:3], s[20:21] offset:32
	;; [unrolled: 1-line block ×3, first 2 shown]
	s_and_saveexec_b64 s[16:17], s[4:5]
	s_cbranch_execz .LBB4_975
; %bb.968:
	v_mov_b32_e32 v10, 0
	global_load_dwordx2 v[13:14], v10, s[36:37] offset:32 glc
	global_load_dwordx2 v[0:1], v10, s[36:37] offset:40
	v_mov_b32_e32 v11, s10
	v_mov_b32_e32 v12, s11
	s_waitcnt vmcnt(0)
	v_readfirstlane_b32 s18, v0
	v_readfirstlane_b32 s19, v1
	s_and_b64 s[18:19], s[18:19], s[10:11]
	s_mul_i32 s15, s19, 24
	s_mul_hi_u32 s19, s18, 24
	s_mul_i32 s18, s18, 24
	s_add_i32 s15, s19, s15
	v_mov_b32_e32 v0, s15
	v_add_co_u32_e32 v4, vcc, s18, v4
	v_addc_co_u32_e32 v5, vcc, v5, v0, vcc
	global_store_dwordx2 v[4:5], v[13:14], off
	s_waitcnt vmcnt(0)
	global_atomic_cmpswap_x2 v[2:3], v10, v[11:14], s[36:37] offset:32 glc
	s_waitcnt vmcnt(0)
	v_cmp_ne_u64_e32 vcc, v[2:3], v[13:14]
	s_and_saveexec_b64 s[18:19], vcc
	s_cbranch_execz .LBB4_971
; %bb.969:
	s_mov_b64 s[20:21], 0
.LBB4_970:                              ; =>This Inner Loop Header: Depth=1
	s_sleep 1
	global_store_dwordx2 v[4:5], v[2:3], off
	v_mov_b32_e32 v0, s10
	v_mov_b32_e32 v1, s11
	s_waitcnt vmcnt(0)
	global_atomic_cmpswap_x2 v[0:1], v10, v[0:3], s[36:37] offset:32 glc
	s_waitcnt vmcnt(0)
	v_cmp_eq_u64_e32 vcc, v[0:1], v[2:3]
	v_mov_b32_e32 v3, v1
	s_or_b64 s[20:21], vcc, s[20:21]
	v_mov_b32_e32 v2, v0
	s_andn2_b64 exec, exec, s[20:21]
	s_cbranch_execnz .LBB4_970
.LBB4_971:
	s_or_b64 exec, exec, s[18:19]
	v_mov_b32_e32 v3, 0
	global_load_dwordx2 v[0:1], v3, s[36:37] offset:16
	s_mov_b64 s[18:19], exec
	v_mbcnt_lo_u32_b32 v2, s18, 0
	v_mbcnt_hi_u32_b32 v2, s19, v2
	v_cmp_eq_u32_e32 vcc, 0, v2
	s_and_saveexec_b64 s[20:21], vcc
	s_cbranch_execz .LBB4_973
; %bb.972:
	s_bcnt1_i32_b64 s15, s[18:19]
	v_mov_b32_e32 v2, s15
	s_waitcnt vmcnt(0)
	global_atomic_add_x2 v[0:1], v[2:3], off offset:8
.LBB4_973:
	s_or_b64 exec, exec, s[20:21]
	s_waitcnt vmcnt(0)
	global_load_dwordx2 v[2:3], v[0:1], off offset:16
	s_waitcnt vmcnt(0)
	v_cmp_eq_u64_e32 vcc, 0, v[2:3]
	s_cbranch_vccnz .LBB4_975
; %bb.974:
	global_load_dword v0, v[0:1], off offset:24
	v_mov_b32_e32 v1, 0
	s_waitcnt vmcnt(0)
	global_store_dwordx2 v[2:3], v[0:1], off
	v_and_b32_e32 v0, 0xffffff, v0
	v_readfirstlane_b32 m0, v0
	s_sendmsg sendmsg(MSG_INTERRUPT)
.LBB4_975:
	s_or_b64 exec, exec, s[16:17]
	s_branch .LBB4_979
.LBB4_976:                              ;   in Loop: Header=BB4_979 Depth=1
	s_or_b64 exec, exec, s[16:17]
	v_readfirstlane_b32 s15, v0
	s_cmp_eq_u32 s15, 0
	s_cbranch_scc1 .LBB4_978
; %bb.977:                              ;   in Loop: Header=BB4_979 Depth=1
	s_sleep 1
	s_cbranch_execnz .LBB4_979
	s_branch .LBB4_981
.LBB4_978:
	s_branch .LBB4_981
.LBB4_979:                              ; =>This Inner Loop Header: Depth=1
	v_mov_b32_e32 v0, 1
	s_and_saveexec_b64 s[16:17], s[4:5]
	s_cbranch_execz .LBB4_976
; %bb.980:                              ;   in Loop: Header=BB4_979 Depth=1
	global_load_dword v0, v[8:9], off offset:20 glc
	s_waitcnt vmcnt(0)
	buffer_wbinvl1_vol
	v_and_b32_e32 v0, 1, v0
	s_branch .LBB4_976
.LBB4_981:
	global_load_dwordx2 v[2:3], v[6:7], off
	s_and_saveexec_b64 s[16:17], s[4:5]
	s_cbranch_execz .LBB4_984
; %bb.982:
	v_mov_b32_e32 v8, 0
	global_load_dwordx2 v[0:1], v8, s[36:37] offset:40
	global_load_dwordx2 v[9:10], v8, s[36:37] offset:24 glc
	global_load_dwordx2 v[11:12], v8, s[36:37]
	v_mov_b32_e32 v5, s11
	s_mov_b64 s[4:5], 0
	s_waitcnt vmcnt(2)
	v_add_co_u32_e32 v6, vcc, 1, v0
	v_addc_co_u32_e32 v7, vcc, 0, v1, vcc
	v_add_co_u32_e32 v4, vcc, s10, v6
	v_addc_co_u32_e32 v5, vcc, v7, v5, vcc
	v_cmp_eq_u64_e32 vcc, 0, v[4:5]
	v_cndmask_b32_e32 v5, v5, v7, vcc
	v_cndmask_b32_e32 v4, v4, v6, vcc
	v_and_b32_e32 v1, v5, v1
	v_and_b32_e32 v0, v4, v0
	v_mul_lo_u32 v1, v1, 24
	v_mul_hi_u32 v7, v0, 24
	v_mul_lo_u32 v0, v0, 24
	s_waitcnt vmcnt(1)
	v_mov_b32_e32 v6, v9
	v_add_u32_e32 v1, v7, v1
	s_waitcnt vmcnt(0)
	v_add_co_u32_e32 v0, vcc, v11, v0
	v_addc_co_u32_e32 v1, vcc, v12, v1, vcc
	global_store_dwordx2 v[0:1], v[9:10], off
	v_mov_b32_e32 v7, v10
	s_waitcnt vmcnt(0)
	global_atomic_cmpswap_x2 v[6:7], v8, v[4:7], s[36:37] offset:24 glc
	s_waitcnt vmcnt(0)
	v_cmp_ne_u64_e32 vcc, v[6:7], v[9:10]
	s_and_b64 exec, exec, vcc
	s_cbranch_execz .LBB4_984
.LBB4_983:                              ; =>This Inner Loop Header: Depth=1
	s_sleep 1
	global_store_dwordx2 v[0:1], v[6:7], off
	s_waitcnt vmcnt(0)
	global_atomic_cmpswap_x2 v[9:10], v8, v[4:7], s[36:37] offset:24 glc
	s_waitcnt vmcnt(0)
	v_cmp_eq_u64_e32 vcc, v[9:10], v[6:7]
	v_mov_b32_e32 v6, v9
	s_or_b64 s[4:5], vcc, s[4:5]
	v_mov_b32_e32 v7, v10
	s_andn2_b64 exec, exec, s[4:5]
	s_cbranch_execnz .LBB4_983
.LBB4_984:
	s_or_b64 exec, exec, s[16:17]
.LBB4_985:
	v_readfirstlane_b32 s4, v50
	s_waitcnt vmcnt(0)
	v_mov_b32_e32 v0, 0
	v_mov_b32_e32 v1, 0
	v_cmp_eq_u32_e64 s[4:5], s4, v50
	s_and_saveexec_b64 s[10:11], s[4:5]
	s_cbranch_execz .LBB4_991
; %bb.986:
	v_mov_b32_e32 v4, 0
	global_load_dwordx2 v[7:8], v4, s[36:37] offset:24 glc
	s_waitcnt vmcnt(0)
	buffer_wbinvl1_vol
	global_load_dwordx2 v[0:1], v4, s[36:37] offset:40
	global_load_dwordx2 v[5:6], v4, s[36:37]
	s_waitcnt vmcnt(1)
	v_and_b32_e32 v0, v0, v7
	v_and_b32_e32 v1, v1, v8
	v_mul_lo_u32 v1, v1, 24
	v_mul_hi_u32 v9, v0, 24
	v_mul_lo_u32 v0, v0, 24
	v_add_u32_e32 v1, v9, v1
	s_waitcnt vmcnt(0)
	v_add_co_u32_e32 v0, vcc, v5, v0
	v_addc_co_u32_e32 v1, vcc, v6, v1, vcc
	global_load_dwordx2 v[5:6], v[0:1], off glc
	s_waitcnt vmcnt(0)
	global_atomic_cmpswap_x2 v[0:1], v4, v[5:8], s[36:37] offset:24 glc
	s_waitcnt vmcnt(0)
	buffer_wbinvl1_vol
	v_cmp_ne_u64_e32 vcc, v[0:1], v[7:8]
	s_and_saveexec_b64 s[16:17], vcc
	s_cbranch_execz .LBB4_990
; %bb.987:
	s_mov_b64 s[18:19], 0
.LBB4_988:                              ; =>This Inner Loop Header: Depth=1
	s_sleep 1
	global_load_dwordx2 v[5:6], v4, s[36:37] offset:40
	global_load_dwordx2 v[9:10], v4, s[36:37]
	v_mov_b32_e32 v8, v1
	v_mov_b32_e32 v7, v0
	s_waitcnt vmcnt(1)
	v_and_b32_e32 v0, v5, v7
	s_waitcnt vmcnt(0)
	v_mad_u64_u32 v[0:1], s[20:21], v0, 24, v[9:10]
	v_and_b32_e32 v5, v6, v8
	v_mad_u64_u32 v[5:6], s[20:21], v5, 24, v[1:2]
	v_mov_b32_e32 v1, v5
	global_load_dwordx2 v[5:6], v[0:1], off glc
	s_waitcnt vmcnt(0)
	global_atomic_cmpswap_x2 v[0:1], v4, v[5:8], s[36:37] offset:24 glc
	s_waitcnt vmcnt(0)
	buffer_wbinvl1_vol
	v_cmp_eq_u64_e32 vcc, v[0:1], v[7:8]
	s_or_b64 s[18:19], vcc, s[18:19]
	s_andn2_b64 exec, exec, s[18:19]
	s_cbranch_execnz .LBB4_988
; %bb.989:
	s_or_b64 exec, exec, s[18:19]
.LBB4_990:
	s_or_b64 exec, exec, s[16:17]
.LBB4_991:
	s_or_b64 exec, exec, s[10:11]
	v_mov_b32_e32 v5, 0
	global_load_dwordx2 v[10:11], v5, s[36:37] offset:40
	global_load_dwordx4 v[6:9], v5, s[36:37]
	v_readfirstlane_b32 s10, v0
	v_readfirstlane_b32 s11, v1
	s_mov_b64 s[16:17], exec
	s_waitcnt vmcnt(1)
	v_readfirstlane_b32 s18, v10
	v_readfirstlane_b32 s19, v11
	s_and_b64 s[18:19], s[10:11], s[18:19]
	s_mul_i32 s15, s19, 24
	s_mul_hi_u32 s20, s18, 24
	s_mul_i32 s21, s18, 24
	s_add_i32 s15, s20, s15
	v_mov_b32_e32 v0, s15
	s_waitcnt vmcnt(0)
	v_add_co_u32_e32 v10, vcc, s21, v6
	v_addc_co_u32_e32 v11, vcc, v7, v0, vcc
	s_and_saveexec_b64 s[20:21], s[4:5]
	s_cbranch_execz .LBB4_993
; %bb.992:
	v_mov_b32_e32 v12, s16
	v_mov_b32_e32 v13, s17
	;; [unrolled: 1-line block ×4, first 2 shown]
	global_store_dwordx4 v[10:11], v[12:15], off offset:8
.LBB4_993:
	s_or_b64 exec, exec, s[20:21]
	s_lshl_b64 s[16:17], s[18:19], 12
	v_mov_b32_e32 v0, s17
	v_add_co_u32_e32 v1, vcc, s16, v8
	v_addc_co_u32_e32 v0, vcc, v9, v0, vcc
	s_movk_i32 s15, 0xff1d
	v_and_or_b32 v2, v2, s15, 34
	s_mov_b32 s16, 0
	v_mov_b32_e32 v4, 0x226
	v_readfirstlane_b32 s20, v1
	v_readfirstlane_b32 s21, v0
	s_mov_b32 s17, s16
	s_mov_b32 s18, s16
	;; [unrolled: 1-line block ×3, first 2 shown]
	s_nop 1
	global_store_dwordx4 v39, v[2:5], s[20:21]
	v_mov_b32_e32 v0, s16
	v_mov_b32_e32 v1, s17
	;; [unrolled: 1-line block ×4, first 2 shown]
	global_store_dwordx4 v39, v[0:3], s[20:21] offset:16
	global_store_dwordx4 v39, v[0:3], s[20:21] offset:32
	;; [unrolled: 1-line block ×3, first 2 shown]
	s_and_saveexec_b64 s[16:17], s[4:5]
	s_cbranch_execz .LBB4_1001
; %bb.994:
	v_mov_b32_e32 v8, 0
	global_load_dwordx2 v[14:15], v8, s[36:37] offset:32 glc
	global_load_dwordx2 v[0:1], v8, s[36:37] offset:40
	v_mov_b32_e32 v12, s10
	v_mov_b32_e32 v13, s11
	s_waitcnt vmcnt(0)
	v_readfirstlane_b32 s18, v0
	v_readfirstlane_b32 s19, v1
	s_and_b64 s[18:19], s[18:19], s[10:11]
	s_mul_i32 s15, s19, 24
	s_mul_hi_u32 s19, s18, 24
	s_mul_i32 s18, s18, 24
	s_add_i32 s15, s19, s15
	v_mov_b32_e32 v0, s15
	v_add_co_u32_e32 v4, vcc, s18, v6
	v_addc_co_u32_e32 v5, vcc, v7, v0, vcc
	global_store_dwordx2 v[4:5], v[14:15], off
	s_waitcnt vmcnt(0)
	global_atomic_cmpswap_x2 v[2:3], v8, v[12:15], s[36:37] offset:32 glc
	s_waitcnt vmcnt(0)
	v_cmp_ne_u64_e32 vcc, v[2:3], v[14:15]
	s_and_saveexec_b64 s[18:19], vcc
	s_cbranch_execz .LBB4_997
; %bb.995:
	s_mov_b64 s[20:21], 0
.LBB4_996:                              ; =>This Inner Loop Header: Depth=1
	s_sleep 1
	global_store_dwordx2 v[4:5], v[2:3], off
	v_mov_b32_e32 v0, s10
	v_mov_b32_e32 v1, s11
	s_waitcnt vmcnt(0)
	global_atomic_cmpswap_x2 v[0:1], v8, v[0:3], s[36:37] offset:32 glc
	s_waitcnt vmcnt(0)
	v_cmp_eq_u64_e32 vcc, v[0:1], v[2:3]
	v_mov_b32_e32 v3, v1
	s_or_b64 s[20:21], vcc, s[20:21]
	v_mov_b32_e32 v2, v0
	s_andn2_b64 exec, exec, s[20:21]
	s_cbranch_execnz .LBB4_996
.LBB4_997:
	s_or_b64 exec, exec, s[18:19]
	v_mov_b32_e32 v3, 0
	global_load_dwordx2 v[0:1], v3, s[36:37] offset:16
	s_mov_b64 s[18:19], exec
	v_mbcnt_lo_u32_b32 v2, s18, 0
	v_mbcnt_hi_u32_b32 v2, s19, v2
	v_cmp_eq_u32_e32 vcc, 0, v2
	s_and_saveexec_b64 s[20:21], vcc
	s_cbranch_execz .LBB4_999
; %bb.998:
	s_bcnt1_i32_b64 s15, s[18:19]
	v_mov_b32_e32 v2, s15
	s_waitcnt vmcnt(0)
	global_atomic_add_x2 v[0:1], v[2:3], off offset:8
.LBB4_999:
	s_or_b64 exec, exec, s[20:21]
	s_waitcnt vmcnt(0)
	global_load_dwordx2 v[2:3], v[0:1], off offset:16
	s_waitcnt vmcnt(0)
	v_cmp_eq_u64_e32 vcc, 0, v[2:3]
	s_cbranch_vccnz .LBB4_1001
; %bb.1000:
	global_load_dword v0, v[0:1], off offset:24
	v_mov_b32_e32 v1, 0
	s_waitcnt vmcnt(0)
	global_store_dwordx2 v[2:3], v[0:1], off
	v_and_b32_e32 v0, 0xffffff, v0
	v_readfirstlane_b32 m0, v0
	s_sendmsg sendmsg(MSG_INTERRUPT)
.LBB4_1001:
	s_or_b64 exec, exec, s[16:17]
	s_branch .LBB4_1005
.LBB4_1002:                             ;   in Loop: Header=BB4_1005 Depth=1
	s_or_b64 exec, exec, s[16:17]
	v_readfirstlane_b32 s15, v0
	s_cmp_eq_u32 s15, 0
	s_cbranch_scc1 .LBB4_1004
; %bb.1003:                             ;   in Loop: Header=BB4_1005 Depth=1
	s_sleep 1
	s_cbranch_execnz .LBB4_1005
	s_branch .LBB4_1007
.LBB4_1004:
	s_branch .LBB4_1007
.LBB4_1005:                             ; =>This Inner Loop Header: Depth=1
	v_mov_b32_e32 v0, 1
	s_and_saveexec_b64 s[16:17], s[4:5]
	s_cbranch_execz .LBB4_1002
; %bb.1006:                             ;   in Loop: Header=BB4_1005 Depth=1
	global_load_dword v0, v[10:11], off offset:20 glc
	s_waitcnt vmcnt(0)
	buffer_wbinvl1_vol
	v_and_b32_e32 v0, 1, v0
	s_branch .LBB4_1002
.LBB4_1007:
	s_and_saveexec_b64 s[16:17], s[4:5]
	s_cbranch_execz .LBB4_1010
; %bb.1008:
	v_mov_b32_e32 v6, 0
	global_load_dwordx2 v[2:3], v6, s[36:37] offset:40
	global_load_dwordx2 v[7:8], v6, s[36:37] offset:24 glc
	global_load_dwordx2 v[4:5], v6, s[36:37]
	v_mov_b32_e32 v1, s11
	s_mov_b64 s[4:5], 0
	s_waitcnt vmcnt(2)
	v_add_co_u32_e32 v9, vcc, 1, v2
	v_addc_co_u32_e32 v10, vcc, 0, v3, vcc
	v_add_co_u32_e32 v0, vcc, s10, v9
	v_addc_co_u32_e32 v1, vcc, v10, v1, vcc
	v_cmp_eq_u64_e32 vcc, 0, v[0:1]
	v_cndmask_b32_e32 v1, v1, v10, vcc
	v_cndmask_b32_e32 v0, v0, v9, vcc
	v_and_b32_e32 v3, v1, v3
	v_and_b32_e32 v2, v0, v2
	v_mul_lo_u32 v3, v3, 24
	v_mul_hi_u32 v9, v2, 24
	v_mul_lo_u32 v10, v2, 24
	s_waitcnt vmcnt(1)
	v_mov_b32_e32 v2, v7
	v_add_u32_e32 v3, v9, v3
	s_waitcnt vmcnt(0)
	v_add_co_u32_e32 v4, vcc, v4, v10
	v_addc_co_u32_e32 v5, vcc, v5, v3, vcc
	global_store_dwordx2 v[4:5], v[7:8], off
	v_mov_b32_e32 v3, v8
	s_waitcnt vmcnt(0)
	global_atomic_cmpswap_x2 v[2:3], v6, v[0:3], s[36:37] offset:24 glc
	s_waitcnt vmcnt(0)
	v_cmp_ne_u64_e32 vcc, v[2:3], v[7:8]
	s_and_b64 exec, exec, vcc
	s_cbranch_execz .LBB4_1010
.LBB4_1009:                             ; =>This Inner Loop Header: Depth=1
	s_sleep 1
	global_store_dwordx2 v[4:5], v[2:3], off
	s_waitcnt vmcnt(0)
	global_atomic_cmpswap_x2 v[7:8], v6, v[0:3], s[36:37] offset:24 glc
	s_waitcnt vmcnt(0)
	v_cmp_eq_u64_e32 vcc, v[7:8], v[2:3]
	v_mov_b32_e32 v2, v7
	s_or_b64 s[4:5], vcc, s[4:5]
	v_mov_b32_e32 v3, v8
	s_andn2_b64 exec, exec, s[4:5]
	s_cbranch_execnz .LBB4_1009
.LBB4_1010:
	s_or_b64 exec, exec, s[16:17]
	v_readfirstlane_b32 s4, v50
	v_mov_b32_e32 v5, 0
	v_mov_b32_e32 v6, 0
	v_cmp_eq_u32_e64 s[4:5], s4, v50
	s_and_saveexec_b64 s[10:11], s[4:5]
	s_cbranch_execz .LBB4_1016
; %bb.1011:
	v_mov_b32_e32 v0, 0
	global_load_dwordx2 v[3:4], v0, s[36:37] offset:24 glc
	s_waitcnt vmcnt(0)
	buffer_wbinvl1_vol
	global_load_dwordx2 v[1:2], v0, s[36:37] offset:40
	global_load_dwordx2 v[5:6], v0, s[36:37]
	s_waitcnt vmcnt(1)
	v_and_b32_e32 v1, v1, v3
	v_and_b32_e32 v2, v2, v4
	v_mul_lo_u32 v2, v2, 24
	v_mul_hi_u32 v7, v1, 24
	v_mul_lo_u32 v1, v1, 24
	v_add_u32_e32 v2, v7, v2
	s_waitcnt vmcnt(0)
	v_add_co_u32_e32 v1, vcc, v5, v1
	v_addc_co_u32_e32 v2, vcc, v6, v2, vcc
	global_load_dwordx2 v[1:2], v[1:2], off glc
	s_waitcnt vmcnt(0)
	global_atomic_cmpswap_x2 v[5:6], v0, v[1:4], s[36:37] offset:24 glc
	s_waitcnt vmcnt(0)
	buffer_wbinvl1_vol
	v_cmp_ne_u64_e32 vcc, v[5:6], v[3:4]
	s_and_saveexec_b64 s[16:17], vcc
	s_cbranch_execz .LBB4_1015
; %bb.1012:
	s_mov_b64 s[18:19], 0
.LBB4_1013:                             ; =>This Inner Loop Header: Depth=1
	s_sleep 1
	global_load_dwordx2 v[1:2], v0, s[36:37] offset:40
	global_load_dwordx2 v[7:8], v0, s[36:37]
	v_mov_b32_e32 v3, v5
	v_mov_b32_e32 v4, v6
	s_waitcnt vmcnt(1)
	v_and_b32_e32 v1, v1, v3
	s_waitcnt vmcnt(0)
	v_mad_u64_u32 v[5:6], s[20:21], v1, 24, v[7:8]
	v_and_b32_e32 v2, v2, v4
	v_mov_b32_e32 v1, v6
	v_mad_u64_u32 v[1:2], s[20:21], v2, 24, v[1:2]
	v_mov_b32_e32 v6, v1
	global_load_dwordx2 v[1:2], v[5:6], off glc
	s_waitcnt vmcnt(0)
	global_atomic_cmpswap_x2 v[5:6], v0, v[1:4], s[36:37] offset:24 glc
	s_waitcnt vmcnt(0)
	buffer_wbinvl1_vol
	v_cmp_eq_u64_e32 vcc, v[5:6], v[3:4]
	s_or_b64 s[18:19], vcc, s[18:19]
	s_andn2_b64 exec, exec, s[18:19]
	s_cbranch_execnz .LBB4_1013
; %bb.1014:
	s_or_b64 exec, exec, s[18:19]
.LBB4_1015:
	s_or_b64 exec, exec, s[16:17]
.LBB4_1016:
	s_or_b64 exec, exec, s[10:11]
	v_mov_b32_e32 v4, 0
	global_load_dwordx2 v[7:8], v4, s[36:37] offset:40
	global_load_dwordx4 v[0:3], v4, s[36:37]
	v_readfirstlane_b32 s10, v5
	v_readfirstlane_b32 s11, v6
	s_mov_b64 s[16:17], exec
	s_waitcnt vmcnt(1)
	v_readfirstlane_b32 s18, v7
	v_readfirstlane_b32 s19, v8
	s_and_b64 s[18:19], s[10:11], s[18:19]
	s_mul_i32 s15, s19, 24
	s_mul_hi_u32 s20, s18, 24
	s_mul_i32 s21, s18, 24
	s_add_i32 s15, s20, s15
	v_mov_b32_e32 v5, s15
	s_waitcnt vmcnt(0)
	v_add_co_u32_e32 v7, vcc, s21, v0
	v_addc_co_u32_e32 v8, vcc, v1, v5, vcc
	s_and_saveexec_b64 s[20:21], s[4:5]
	s_cbranch_execz .LBB4_1018
; %bb.1017:
	v_mov_b32_e32 v9, s16
	v_mov_b32_e32 v10, s17
	;; [unrolled: 1-line block ×4, first 2 shown]
	global_store_dwordx4 v[7:8], v[9:12], off offset:8
.LBB4_1018:
	s_or_b64 exec, exec, s[20:21]
	s_lshl_b64 s[16:17], s[18:19], 12
	v_mov_b32_e32 v5, s17
	v_add_co_u32_e32 v2, vcc, s16, v2
	v_addc_co_u32_e32 v11, vcc, v3, v5, vcc
	s_mov_b32 s16, 0
	v_mov_b32_e32 v3, 33
	v_mov_b32_e32 v5, v4
	;; [unrolled: 1-line block ×3, first 2 shown]
	v_readfirstlane_b32 s20, v2
	v_readfirstlane_b32 s21, v11
	v_add_co_u32_e32 v9, vcc, v2, v39
	s_mov_b32 s17, s16
	s_mov_b32 s18, s16
	;; [unrolled: 1-line block ×3, first 2 shown]
	s_nop 0
	global_store_dwordx4 v39, v[3:6], s[20:21]
	v_mov_b32_e32 v2, s16
	v_addc_co_u32_e32 v10, vcc, 0, v11, vcc
	v_mov_b32_e32 v3, s17
	v_mov_b32_e32 v4, s18
	;; [unrolled: 1-line block ×3, first 2 shown]
	global_store_dwordx4 v39, v[2:5], s[20:21] offset:16
	global_store_dwordx4 v39, v[2:5], s[20:21] offset:32
	;; [unrolled: 1-line block ×3, first 2 shown]
	s_and_saveexec_b64 s[16:17], s[4:5]
	s_cbranch_execz .LBB4_1026
; %bb.1019:
	v_mov_b32_e32 v6, 0
	global_load_dwordx2 v[13:14], v6, s[36:37] offset:32 glc
	global_load_dwordx2 v[2:3], v6, s[36:37] offset:40
	v_mov_b32_e32 v11, s10
	v_mov_b32_e32 v12, s11
	s_waitcnt vmcnt(0)
	v_readfirstlane_b32 s18, v2
	v_readfirstlane_b32 s19, v3
	s_and_b64 s[18:19], s[18:19], s[10:11]
	s_mul_i32 s15, s19, 24
	s_mul_hi_u32 s19, s18, 24
	s_mul_i32 s18, s18, 24
	s_add_i32 s15, s19, s15
	v_mov_b32_e32 v2, s15
	v_add_co_u32_e32 v4, vcc, s18, v0
	v_addc_co_u32_e32 v5, vcc, v1, v2, vcc
	global_store_dwordx2 v[4:5], v[13:14], off
	s_waitcnt vmcnt(0)
	global_atomic_cmpswap_x2 v[2:3], v6, v[11:14], s[36:37] offset:32 glc
	s_waitcnt vmcnt(0)
	v_cmp_ne_u64_e32 vcc, v[2:3], v[13:14]
	s_and_saveexec_b64 s[18:19], vcc
	s_cbranch_execz .LBB4_1022
; %bb.1020:
	s_mov_b64 s[20:21], 0
.LBB4_1021:                             ; =>This Inner Loop Header: Depth=1
	s_sleep 1
	global_store_dwordx2 v[4:5], v[2:3], off
	v_mov_b32_e32 v0, s10
	v_mov_b32_e32 v1, s11
	s_waitcnt vmcnt(0)
	global_atomic_cmpswap_x2 v[0:1], v6, v[0:3], s[36:37] offset:32 glc
	s_waitcnt vmcnt(0)
	v_cmp_eq_u64_e32 vcc, v[0:1], v[2:3]
	v_mov_b32_e32 v3, v1
	s_or_b64 s[20:21], vcc, s[20:21]
	v_mov_b32_e32 v2, v0
	s_andn2_b64 exec, exec, s[20:21]
	s_cbranch_execnz .LBB4_1021
.LBB4_1022:
	s_or_b64 exec, exec, s[18:19]
	v_mov_b32_e32 v3, 0
	global_load_dwordx2 v[0:1], v3, s[36:37] offset:16
	s_mov_b64 s[18:19], exec
	v_mbcnt_lo_u32_b32 v2, s18, 0
	v_mbcnt_hi_u32_b32 v2, s19, v2
	v_cmp_eq_u32_e32 vcc, 0, v2
	s_and_saveexec_b64 s[20:21], vcc
	s_cbranch_execz .LBB4_1024
; %bb.1023:
	s_bcnt1_i32_b64 s15, s[18:19]
	v_mov_b32_e32 v2, s15
	s_waitcnt vmcnt(0)
	global_atomic_add_x2 v[0:1], v[2:3], off offset:8
.LBB4_1024:
	s_or_b64 exec, exec, s[20:21]
	s_waitcnt vmcnt(0)
	global_load_dwordx2 v[2:3], v[0:1], off offset:16
	s_waitcnt vmcnt(0)
	v_cmp_eq_u64_e32 vcc, 0, v[2:3]
	s_cbranch_vccnz .LBB4_1026
; %bb.1025:
	global_load_dword v0, v[0:1], off offset:24
	v_mov_b32_e32 v1, 0
	s_waitcnt vmcnt(0)
	global_store_dwordx2 v[2:3], v[0:1], off
	v_and_b32_e32 v0, 0xffffff, v0
	v_readfirstlane_b32 m0, v0
	s_sendmsg sendmsg(MSG_INTERRUPT)
.LBB4_1026:
	s_or_b64 exec, exec, s[16:17]
	s_branch .LBB4_1030
.LBB4_1027:                             ;   in Loop: Header=BB4_1030 Depth=1
	s_or_b64 exec, exec, s[16:17]
	v_readfirstlane_b32 s15, v0
	s_cmp_eq_u32 s15, 0
	s_cbranch_scc1 .LBB4_1029
; %bb.1028:                             ;   in Loop: Header=BB4_1030 Depth=1
	s_sleep 1
	s_cbranch_execnz .LBB4_1030
	s_branch .LBB4_1032
.LBB4_1029:
	s_branch .LBB4_1032
.LBB4_1030:                             ; =>This Inner Loop Header: Depth=1
	v_mov_b32_e32 v0, 1
	s_and_saveexec_b64 s[16:17], s[4:5]
	s_cbranch_execz .LBB4_1027
; %bb.1031:                             ;   in Loop: Header=BB4_1030 Depth=1
	global_load_dword v0, v[7:8], off offset:20 glc
	s_waitcnt vmcnt(0)
	buffer_wbinvl1_vol
	v_and_b32_e32 v0, 1, v0
	s_branch .LBB4_1027
.LBB4_1032:
	global_load_dwordx2 v[0:1], v[9:10], off
	s_and_saveexec_b64 s[16:17], s[4:5]
	s_cbranch_execz .LBB4_1035
; %bb.1033:
	v_mov_b32_e32 v8, 0
	global_load_dwordx2 v[4:5], v8, s[36:37] offset:40
	global_load_dwordx2 v[9:10], v8, s[36:37] offset:24 glc
	global_load_dwordx2 v[6:7], v8, s[36:37]
	v_mov_b32_e32 v3, s11
	s_mov_b64 s[4:5], 0
	s_waitcnt vmcnt(2)
	v_add_co_u32_e32 v11, vcc, 1, v4
	v_addc_co_u32_e32 v12, vcc, 0, v5, vcc
	v_add_co_u32_e32 v2, vcc, s10, v11
	v_addc_co_u32_e32 v3, vcc, v12, v3, vcc
	v_cmp_eq_u64_e32 vcc, 0, v[2:3]
	v_cndmask_b32_e32 v3, v3, v12, vcc
	v_cndmask_b32_e32 v2, v2, v11, vcc
	v_and_b32_e32 v5, v3, v5
	v_and_b32_e32 v4, v2, v4
	v_mul_lo_u32 v5, v5, 24
	v_mul_hi_u32 v11, v4, 24
	v_mul_lo_u32 v12, v4, 24
	s_waitcnt vmcnt(1)
	v_mov_b32_e32 v4, v9
	v_add_u32_e32 v5, v11, v5
	s_waitcnt vmcnt(0)
	v_add_co_u32_e32 v6, vcc, v6, v12
	v_addc_co_u32_e32 v7, vcc, v7, v5, vcc
	global_store_dwordx2 v[6:7], v[9:10], off
	v_mov_b32_e32 v5, v10
	s_waitcnt vmcnt(0)
	global_atomic_cmpswap_x2 v[4:5], v8, v[2:5], s[36:37] offset:24 glc
	s_waitcnt vmcnt(0)
	v_cmp_ne_u64_e32 vcc, v[4:5], v[9:10]
	s_and_b64 exec, exec, vcc
	s_cbranch_execz .LBB4_1035
.LBB4_1034:                             ; =>This Inner Loop Header: Depth=1
	s_sleep 1
	global_store_dwordx2 v[6:7], v[4:5], off
	s_waitcnt vmcnt(0)
	global_atomic_cmpswap_x2 v[9:10], v8, v[2:5], s[36:37] offset:24 glc
	s_waitcnt vmcnt(0)
	v_cmp_eq_u64_e32 vcc, v[9:10], v[4:5]
	v_mov_b32_e32 v4, v9
	s_or_b64 s[4:5], vcc, s[4:5]
	v_mov_b32_e32 v5, v10
	s_andn2_b64 exec, exec, s[4:5]
	s_cbranch_execnz .LBB4_1034
.LBB4_1035:
	s_or_b64 exec, exec, s[16:17]
	s_and_b64 vcc, exec, s[40:41]
	s_cbranch_vccz .LBB4_1120
; %bb.1036:
	s_waitcnt vmcnt(0)
	v_and_b32_e32 v31, 2, v0
	v_mov_b32_e32 v28, 0
	v_and_b32_e32 v2, -3, v0
	v_mov_b32_e32 v3, v1
	s_mov_b64 s[16:17], 3
	v_mov_b32_e32 v6, 2
	v_mov_b32_e32 v7, 1
	s_getpc_b64 s[10:11]
	s_add_u32 s10, s10, .str.6@rel32@lo+4
	s_addc_u32 s11, s11, .str.6@rel32@hi+12
	s_branch .LBB4_1038
.LBB4_1037:                             ;   in Loop: Header=BB4_1038 Depth=1
	s_or_b64 exec, exec, s[22:23]
	s_sub_u32 s16, s16, s18
	s_subb_u32 s17, s17, s19
	s_add_u32 s10, s10, s18
	s_addc_u32 s11, s11, s19
	s_cmp_lg_u64 s[16:17], 0
	s_cbranch_scc0 .LBB4_1119
.LBB4_1038:                             ; =>This Loop Header: Depth=1
                                        ;     Child Loop BB4_1041 Depth 2
                                        ;     Child Loop BB4_1048 Depth 2
	;; [unrolled: 1-line block ×11, first 2 shown]
	v_cmp_lt_u64_e64 s[4:5], s[16:17], 56
	v_cmp_gt_u64_e64 s[20:21], s[16:17], 7
	s_and_b64 s[4:5], s[4:5], exec
	s_cselect_b32 s19, s17, 0
	s_cselect_b32 s18, s16, 56
	s_and_b64 vcc, exec, s[20:21]
	s_cbranch_vccnz .LBB4_1043
; %bb.1039:                             ;   in Loop: Header=BB4_1038 Depth=1
	v_mov_b32_e32 v10, 0
	s_cmp_eq_u64 s[16:17], 0
	v_mov_b32_e32 v11, 0
	s_mov_b64 s[4:5], 0
	s_cbranch_scc1 .LBB4_1042
; %bb.1040:                             ;   in Loop: Header=BB4_1038 Depth=1
	v_mov_b32_e32 v10, 0
	s_lshl_b64 s[20:21], s[18:19], 3
	s_mov_b64 s[22:23], 0
	v_mov_b32_e32 v11, 0
	s_mov_b64 s[24:25], s[10:11]
.LBB4_1041:                             ;   Parent Loop BB4_1038 Depth=1
                                        ; =>  This Inner Loop Header: Depth=2
	global_load_ubyte v4, v28, s[24:25]
	s_waitcnt vmcnt(0)
	v_and_b32_e32 v27, 0xffff, v4
	v_lshlrev_b64 v[4:5], s22, v[27:28]
	s_add_u32 s22, s22, 8
	s_addc_u32 s23, s23, 0
	s_add_u32 s24, s24, 1
	s_addc_u32 s25, s25, 0
	v_or_b32_e32 v10, v4, v10
	s_cmp_lg_u32 s20, s22
	v_or_b32_e32 v11, v5, v11
	s_cbranch_scc1 .LBB4_1041
.LBB4_1042:                             ;   in Loop: Header=BB4_1038 Depth=1
	s_mov_b32 s15, 0
	s_andn2_b64 vcc, exec, s[4:5]
	s_mov_b64 s[4:5], s[10:11]
	s_cbranch_vccz .LBB4_1044
	s_branch .LBB4_1045
.LBB4_1043:                             ;   in Loop: Header=BB4_1038 Depth=1
                                        ; implicit-def: $vgpr10_vgpr11
                                        ; implicit-def: $sgpr15
	s_mov_b64 s[4:5], s[10:11]
.LBB4_1044:                             ;   in Loop: Header=BB4_1038 Depth=1
	global_load_dwordx2 v[10:11], v28, s[10:11]
	s_add_i32 s15, s18, -8
	s_add_u32 s4, s10, 8
	s_addc_u32 s5, s11, 0
.LBB4_1045:                             ;   in Loop: Header=BB4_1038 Depth=1
	s_cmp_gt_u32 s15, 7
	s_cbranch_scc1 .LBB4_1049
; %bb.1046:                             ;   in Loop: Header=BB4_1038 Depth=1
	s_cmp_eq_u32 s15, 0
	s_cbranch_scc1 .LBB4_1050
; %bb.1047:                             ;   in Loop: Header=BB4_1038 Depth=1
	v_mov_b32_e32 v12, 0
	s_mov_b64 s[20:21], 0
	v_mov_b32_e32 v13, 0
	s_mov_b64 s[22:23], 0
.LBB4_1048:                             ;   Parent Loop BB4_1038 Depth=1
                                        ; =>  This Inner Loop Header: Depth=2
	s_add_u32 s24, s4, s22
	s_addc_u32 s25, s5, s23
	global_load_ubyte v4, v28, s[24:25]
	s_add_u32 s22, s22, 1
	s_addc_u32 s23, s23, 0
	s_waitcnt vmcnt(0)
	v_and_b32_e32 v27, 0xffff, v4
	v_lshlrev_b64 v[4:5], s20, v[27:28]
	s_add_u32 s20, s20, 8
	s_addc_u32 s21, s21, 0
	v_or_b32_e32 v12, v4, v12
	s_cmp_lg_u32 s15, s22
	v_or_b32_e32 v13, v5, v13
	s_cbranch_scc1 .LBB4_1048
	s_branch .LBB4_1051
.LBB4_1049:                             ;   in Loop: Header=BB4_1038 Depth=1
                                        ; implicit-def: $vgpr12_vgpr13
                                        ; implicit-def: $sgpr24
	s_branch .LBB4_1052
.LBB4_1050:                             ;   in Loop: Header=BB4_1038 Depth=1
	v_mov_b32_e32 v12, 0
	v_mov_b32_e32 v13, 0
.LBB4_1051:                             ;   in Loop: Header=BB4_1038 Depth=1
	s_mov_b32 s24, 0
	s_cbranch_execnz .LBB4_1053
.LBB4_1052:                             ;   in Loop: Header=BB4_1038 Depth=1
	global_load_dwordx2 v[12:13], v28, s[4:5]
	s_add_i32 s24, s15, -8
	s_add_u32 s4, s4, 8
	s_addc_u32 s5, s5, 0
.LBB4_1053:                             ;   in Loop: Header=BB4_1038 Depth=1
	s_cmp_gt_u32 s24, 7
	s_cbranch_scc1 .LBB4_1057
; %bb.1054:                             ;   in Loop: Header=BB4_1038 Depth=1
	s_cmp_eq_u32 s24, 0
	s_cbranch_scc1 .LBB4_1058
; %bb.1055:                             ;   in Loop: Header=BB4_1038 Depth=1
	v_mov_b32_e32 v14, 0
	s_mov_b64 s[20:21], 0
	v_mov_b32_e32 v15, 0
	s_mov_b64 s[22:23], 0
.LBB4_1056:                             ;   Parent Loop BB4_1038 Depth=1
                                        ; =>  This Inner Loop Header: Depth=2
	s_add_u32 s26, s4, s22
	s_addc_u32 s27, s5, s23
	global_load_ubyte v4, v28, s[26:27]
	s_add_u32 s22, s22, 1
	s_addc_u32 s23, s23, 0
	s_waitcnt vmcnt(0)
	v_and_b32_e32 v27, 0xffff, v4
	v_lshlrev_b64 v[4:5], s20, v[27:28]
	s_add_u32 s20, s20, 8
	s_addc_u32 s21, s21, 0
	v_or_b32_e32 v14, v4, v14
	s_cmp_lg_u32 s24, s22
	v_or_b32_e32 v15, v5, v15
	s_cbranch_scc1 .LBB4_1056
	s_branch .LBB4_1059
.LBB4_1057:                             ;   in Loop: Header=BB4_1038 Depth=1
                                        ; implicit-def: $sgpr15
	s_branch .LBB4_1060
.LBB4_1058:                             ;   in Loop: Header=BB4_1038 Depth=1
	v_mov_b32_e32 v14, 0
	v_mov_b32_e32 v15, 0
.LBB4_1059:                             ;   in Loop: Header=BB4_1038 Depth=1
	s_mov_b32 s15, 0
	s_cbranch_execnz .LBB4_1061
.LBB4_1060:                             ;   in Loop: Header=BB4_1038 Depth=1
	global_load_dwordx2 v[14:15], v28, s[4:5]
	s_add_i32 s15, s24, -8
	s_add_u32 s4, s4, 8
	s_addc_u32 s5, s5, 0
.LBB4_1061:                             ;   in Loop: Header=BB4_1038 Depth=1
	s_cmp_gt_u32 s15, 7
	s_cbranch_scc1 .LBB4_1065
; %bb.1062:                             ;   in Loop: Header=BB4_1038 Depth=1
	s_cmp_eq_u32 s15, 0
	s_cbranch_scc1 .LBB4_1066
; %bb.1063:                             ;   in Loop: Header=BB4_1038 Depth=1
	v_mov_b32_e32 v16, 0
	s_mov_b64 s[20:21], 0
	v_mov_b32_e32 v17, 0
	s_mov_b64 s[22:23], 0
.LBB4_1064:                             ;   Parent Loop BB4_1038 Depth=1
                                        ; =>  This Inner Loop Header: Depth=2
	s_add_u32 s24, s4, s22
	s_addc_u32 s25, s5, s23
	global_load_ubyte v4, v28, s[24:25]
	s_add_u32 s22, s22, 1
	s_addc_u32 s23, s23, 0
	s_waitcnt vmcnt(0)
	v_and_b32_e32 v27, 0xffff, v4
	v_lshlrev_b64 v[4:5], s20, v[27:28]
	s_add_u32 s20, s20, 8
	s_addc_u32 s21, s21, 0
	v_or_b32_e32 v16, v4, v16
	s_cmp_lg_u32 s15, s22
	v_or_b32_e32 v17, v5, v17
	s_cbranch_scc1 .LBB4_1064
	s_branch .LBB4_1067
.LBB4_1065:                             ;   in Loop: Header=BB4_1038 Depth=1
                                        ; implicit-def: $vgpr16_vgpr17
                                        ; implicit-def: $sgpr24
	s_branch .LBB4_1068
.LBB4_1066:                             ;   in Loop: Header=BB4_1038 Depth=1
	v_mov_b32_e32 v16, 0
	v_mov_b32_e32 v17, 0
.LBB4_1067:                             ;   in Loop: Header=BB4_1038 Depth=1
	s_mov_b32 s24, 0
	s_cbranch_execnz .LBB4_1069
.LBB4_1068:                             ;   in Loop: Header=BB4_1038 Depth=1
	global_load_dwordx2 v[16:17], v28, s[4:5]
	s_add_i32 s24, s15, -8
	s_add_u32 s4, s4, 8
	s_addc_u32 s5, s5, 0
.LBB4_1069:                             ;   in Loop: Header=BB4_1038 Depth=1
	s_cmp_gt_u32 s24, 7
	s_cbranch_scc1 .LBB4_1073
; %bb.1070:                             ;   in Loop: Header=BB4_1038 Depth=1
	s_cmp_eq_u32 s24, 0
	s_cbranch_scc1 .LBB4_1074
; %bb.1071:                             ;   in Loop: Header=BB4_1038 Depth=1
	v_mov_b32_e32 v18, 0
	s_mov_b64 s[20:21], 0
	v_mov_b32_e32 v19, 0
	s_mov_b64 s[22:23], 0
.LBB4_1072:                             ;   Parent Loop BB4_1038 Depth=1
                                        ; =>  This Inner Loop Header: Depth=2
	s_add_u32 s26, s4, s22
	s_addc_u32 s27, s5, s23
	global_load_ubyte v4, v28, s[26:27]
	s_add_u32 s22, s22, 1
	s_addc_u32 s23, s23, 0
	s_waitcnt vmcnt(0)
	v_and_b32_e32 v27, 0xffff, v4
	v_lshlrev_b64 v[4:5], s20, v[27:28]
	s_add_u32 s20, s20, 8
	s_addc_u32 s21, s21, 0
	v_or_b32_e32 v18, v4, v18
	s_cmp_lg_u32 s24, s22
	v_or_b32_e32 v19, v5, v19
	s_cbranch_scc1 .LBB4_1072
	s_branch .LBB4_1075
.LBB4_1073:                             ;   in Loop: Header=BB4_1038 Depth=1
                                        ; implicit-def: $sgpr15
	s_branch .LBB4_1076
.LBB4_1074:                             ;   in Loop: Header=BB4_1038 Depth=1
	v_mov_b32_e32 v18, 0
	v_mov_b32_e32 v19, 0
.LBB4_1075:                             ;   in Loop: Header=BB4_1038 Depth=1
	s_mov_b32 s15, 0
	s_cbranch_execnz .LBB4_1077
.LBB4_1076:                             ;   in Loop: Header=BB4_1038 Depth=1
	global_load_dwordx2 v[18:19], v28, s[4:5]
	s_add_i32 s15, s24, -8
	s_add_u32 s4, s4, 8
	s_addc_u32 s5, s5, 0
.LBB4_1077:                             ;   in Loop: Header=BB4_1038 Depth=1
	s_cmp_gt_u32 s15, 7
	s_cbranch_scc1 .LBB4_1081
; %bb.1078:                             ;   in Loop: Header=BB4_1038 Depth=1
	s_cmp_eq_u32 s15, 0
	s_cbranch_scc1 .LBB4_1082
; %bb.1079:                             ;   in Loop: Header=BB4_1038 Depth=1
	v_mov_b32_e32 v20, 0
	s_mov_b64 s[20:21], 0
	v_mov_b32_e32 v21, 0
	s_mov_b64 s[22:23], 0
.LBB4_1080:                             ;   Parent Loop BB4_1038 Depth=1
                                        ; =>  This Inner Loop Header: Depth=2
	s_add_u32 s24, s4, s22
	s_addc_u32 s25, s5, s23
	global_load_ubyte v4, v28, s[24:25]
	s_add_u32 s22, s22, 1
	s_addc_u32 s23, s23, 0
	s_waitcnt vmcnt(0)
	v_and_b32_e32 v27, 0xffff, v4
	v_lshlrev_b64 v[4:5], s20, v[27:28]
	s_add_u32 s20, s20, 8
	s_addc_u32 s21, s21, 0
	v_or_b32_e32 v20, v4, v20
	s_cmp_lg_u32 s15, s22
	v_or_b32_e32 v21, v5, v21
	s_cbranch_scc1 .LBB4_1080
	s_branch .LBB4_1083
.LBB4_1081:                             ;   in Loop: Header=BB4_1038 Depth=1
                                        ; implicit-def: $vgpr20_vgpr21
                                        ; implicit-def: $sgpr24
	s_branch .LBB4_1084
.LBB4_1082:                             ;   in Loop: Header=BB4_1038 Depth=1
	v_mov_b32_e32 v20, 0
	v_mov_b32_e32 v21, 0
.LBB4_1083:                             ;   in Loop: Header=BB4_1038 Depth=1
	s_mov_b32 s24, 0
	s_cbranch_execnz .LBB4_1085
.LBB4_1084:                             ;   in Loop: Header=BB4_1038 Depth=1
	global_load_dwordx2 v[20:21], v28, s[4:5]
	s_add_i32 s24, s15, -8
	s_add_u32 s4, s4, 8
	s_addc_u32 s5, s5, 0
.LBB4_1085:                             ;   in Loop: Header=BB4_1038 Depth=1
	s_cmp_gt_u32 s24, 7
	s_cbranch_scc1 .LBB4_1089
; %bb.1086:                             ;   in Loop: Header=BB4_1038 Depth=1
	s_cmp_eq_u32 s24, 0
	s_cbranch_scc1 .LBB4_1090
; %bb.1087:                             ;   in Loop: Header=BB4_1038 Depth=1
	v_mov_b32_e32 v22, 0
	s_mov_b64 s[20:21], 0
	v_mov_b32_e32 v23, 0
	s_mov_b64 s[22:23], s[4:5]
.LBB4_1088:                             ;   Parent Loop BB4_1038 Depth=1
                                        ; =>  This Inner Loop Header: Depth=2
	global_load_ubyte v4, v28, s[22:23]
	s_add_i32 s24, s24, -1
	s_waitcnt vmcnt(0)
	v_and_b32_e32 v27, 0xffff, v4
	v_lshlrev_b64 v[4:5], s20, v[27:28]
	s_add_u32 s20, s20, 8
	s_addc_u32 s21, s21, 0
	s_add_u32 s22, s22, 1
	s_addc_u32 s23, s23, 0
	v_or_b32_e32 v22, v4, v22
	s_cmp_lg_u32 s24, 0
	v_or_b32_e32 v23, v5, v23
	s_cbranch_scc1 .LBB4_1088
	s_branch .LBB4_1091
.LBB4_1089:                             ;   in Loop: Header=BB4_1038 Depth=1
	s_branch .LBB4_1092
.LBB4_1090:                             ;   in Loop: Header=BB4_1038 Depth=1
	v_mov_b32_e32 v22, 0
	v_mov_b32_e32 v23, 0
.LBB4_1091:                             ;   in Loop: Header=BB4_1038 Depth=1
	s_cbranch_execnz .LBB4_1093
.LBB4_1092:                             ;   in Loop: Header=BB4_1038 Depth=1
	global_load_dwordx2 v[22:23], v28, s[4:5]
.LBB4_1093:                             ;   in Loop: Header=BB4_1038 Depth=1
	v_readfirstlane_b32 s4, v50
	s_waitcnt vmcnt(0)
	v_mov_b32_e32 v4, 0
	v_mov_b32_e32 v5, 0
	v_cmp_eq_u32_e64 s[4:5], s4, v50
	s_and_saveexec_b64 s[20:21], s[4:5]
	s_cbranch_execz .LBB4_1099
; %bb.1094:                             ;   in Loop: Header=BB4_1038 Depth=1
	global_load_dwordx2 v[26:27], v28, s[36:37] offset:24 glc
	s_waitcnt vmcnt(0)
	buffer_wbinvl1_vol
	global_load_dwordx2 v[4:5], v28, s[36:37] offset:40
	global_load_dwordx2 v[8:9], v28, s[36:37]
	s_waitcnt vmcnt(1)
	v_and_b32_e32 v4, v4, v26
	v_and_b32_e32 v5, v5, v27
	v_mul_lo_u32 v5, v5, 24
	v_mul_hi_u32 v24, v4, 24
	v_mul_lo_u32 v4, v4, 24
	v_add_u32_e32 v5, v24, v5
	s_waitcnt vmcnt(0)
	v_add_co_u32_e32 v4, vcc, v8, v4
	v_addc_co_u32_e32 v5, vcc, v9, v5, vcc
	global_load_dwordx2 v[24:25], v[4:5], off glc
	s_waitcnt vmcnt(0)
	global_atomic_cmpswap_x2 v[4:5], v28, v[24:27], s[36:37] offset:24 glc
	s_waitcnt vmcnt(0)
	buffer_wbinvl1_vol
	v_cmp_ne_u64_e32 vcc, v[4:5], v[26:27]
	s_and_saveexec_b64 s[22:23], vcc
	s_cbranch_execz .LBB4_1098
; %bb.1095:                             ;   in Loop: Header=BB4_1038 Depth=1
	s_mov_b64 s[24:25], 0
.LBB4_1096:                             ;   Parent Loop BB4_1038 Depth=1
                                        ; =>  This Inner Loop Header: Depth=2
	s_sleep 1
	global_load_dwordx2 v[8:9], v28, s[36:37] offset:40
	global_load_dwordx2 v[24:25], v28, s[36:37]
	v_mov_b32_e32 v27, v5
	v_mov_b32_e32 v26, v4
	s_waitcnt vmcnt(1)
	v_and_b32_e32 v4, v8, v26
	s_waitcnt vmcnt(0)
	v_mad_u64_u32 v[4:5], s[26:27], v4, 24, v[24:25]
	v_and_b32_e32 v8, v9, v27
	v_mad_u64_u32 v[8:9], s[26:27], v8, 24, v[5:6]
	v_mov_b32_e32 v5, v8
	global_load_dwordx2 v[24:25], v[4:5], off glc
	s_waitcnt vmcnt(0)
	global_atomic_cmpswap_x2 v[4:5], v28, v[24:27], s[36:37] offset:24 glc
	s_waitcnt vmcnt(0)
	buffer_wbinvl1_vol
	v_cmp_eq_u64_e32 vcc, v[4:5], v[26:27]
	s_or_b64 s[24:25], vcc, s[24:25]
	s_andn2_b64 exec, exec, s[24:25]
	s_cbranch_execnz .LBB4_1096
; %bb.1097:                             ;   in Loop: Header=BB4_1038 Depth=1
	s_or_b64 exec, exec, s[24:25]
.LBB4_1098:                             ;   in Loop: Header=BB4_1038 Depth=1
	s_or_b64 exec, exec, s[22:23]
.LBB4_1099:                             ;   in Loop: Header=BB4_1038 Depth=1
	s_or_b64 exec, exec, s[20:21]
	global_load_dwordx2 v[8:9], v28, s[36:37] offset:40
	global_load_dwordx4 v[24:27], v28, s[36:37]
	v_readfirstlane_b32 s20, v4
	v_readfirstlane_b32 s21, v5
	s_mov_b64 s[22:23], exec
	s_waitcnt vmcnt(1)
	v_readfirstlane_b32 s24, v8
	v_readfirstlane_b32 s25, v9
	s_and_b64 s[24:25], s[20:21], s[24:25]
	s_mul_i32 s15, s25, 24
	s_mul_hi_u32 s26, s24, 24
	s_mul_i32 s27, s24, 24
	s_add_i32 s15, s26, s15
	v_mov_b32_e32 v4, s15
	s_waitcnt vmcnt(0)
	v_add_co_u32_e32 v29, vcc, s27, v24
	v_addc_co_u32_e32 v30, vcc, v25, v4, vcc
	s_and_saveexec_b64 s[26:27], s[4:5]
	s_cbranch_execz .LBB4_1101
; %bb.1100:                             ;   in Loop: Header=BB4_1038 Depth=1
	v_mov_b32_e32 v4, s22
	v_mov_b32_e32 v5, s23
	global_store_dwordx4 v[29:30], v[4:7], off offset:8
.LBB4_1101:                             ;   in Loop: Header=BB4_1038 Depth=1
	s_or_b64 exec, exec, s[26:27]
	s_lshl_b64 s[22:23], s[24:25], 12
	v_mov_b32_e32 v4, s23
	v_add_co_u32_e32 v26, vcc, s22, v26
	v_addc_co_u32_e32 v32, vcc, v27, v4, vcc
	v_cmp_gt_u64_e64 vcc, s[16:17], 56
	v_or_b32_e32 v5, v2, v31
	s_lshl_b32 s15, s18, 2
	v_cndmask_b32_e32 v2, v5, v2, vcc
	s_add_i32 s15, s15, 28
	v_or_b32_e32 v4, 0, v3
	s_and_b32 s15, s15, 0x1e0
	v_and_b32_e32 v2, 0xffffff1f, v2
	v_cndmask_b32_e32 v9, v4, v3, vcc
	v_or_b32_e32 v8, s15, v2
	v_readfirstlane_b32 s22, v26
	v_readfirstlane_b32 s23, v32
	s_nop 4
	global_store_dwordx4 v39, v[8:11], s[22:23]
	global_store_dwordx4 v39, v[12:15], s[22:23] offset:16
	global_store_dwordx4 v39, v[16:19], s[22:23] offset:32
	;; [unrolled: 1-line block ×3, first 2 shown]
	s_and_saveexec_b64 s[22:23], s[4:5]
	s_cbranch_execz .LBB4_1109
; %bb.1102:                             ;   in Loop: Header=BB4_1038 Depth=1
	global_load_dwordx2 v[12:13], v28, s[36:37] offset:32 glc
	global_load_dwordx2 v[2:3], v28, s[36:37] offset:40
	v_mov_b32_e32 v10, s20
	v_mov_b32_e32 v11, s21
	s_waitcnt vmcnt(0)
	v_readfirstlane_b32 s24, v2
	v_readfirstlane_b32 s25, v3
	s_and_b64 s[24:25], s[24:25], s[20:21]
	s_mul_i32 s15, s25, 24
	s_mul_hi_u32 s25, s24, 24
	s_mul_i32 s24, s24, 24
	s_add_i32 s15, s25, s15
	v_mov_b32_e32 v2, s15
	v_add_co_u32_e32 v8, vcc, s24, v24
	v_addc_co_u32_e32 v9, vcc, v25, v2, vcc
	global_store_dwordx2 v[8:9], v[12:13], off
	s_waitcnt vmcnt(0)
	global_atomic_cmpswap_x2 v[4:5], v28, v[10:13], s[36:37] offset:32 glc
	s_waitcnt vmcnt(0)
	v_cmp_ne_u64_e32 vcc, v[4:5], v[12:13]
	s_and_saveexec_b64 s[24:25], vcc
	s_cbranch_execz .LBB4_1105
; %bb.1103:                             ;   in Loop: Header=BB4_1038 Depth=1
	s_mov_b64 s[26:27], 0
.LBB4_1104:                             ;   Parent Loop BB4_1038 Depth=1
                                        ; =>  This Inner Loop Header: Depth=2
	s_sleep 1
	global_store_dwordx2 v[8:9], v[4:5], off
	v_mov_b32_e32 v2, s20
	v_mov_b32_e32 v3, s21
	s_waitcnt vmcnt(0)
	global_atomic_cmpswap_x2 v[2:3], v28, v[2:5], s[36:37] offset:32 glc
	s_waitcnt vmcnt(0)
	v_cmp_eq_u64_e32 vcc, v[2:3], v[4:5]
	v_mov_b32_e32 v5, v3
	s_or_b64 s[26:27], vcc, s[26:27]
	v_mov_b32_e32 v4, v2
	s_andn2_b64 exec, exec, s[26:27]
	s_cbranch_execnz .LBB4_1104
.LBB4_1105:                             ;   in Loop: Header=BB4_1038 Depth=1
	s_or_b64 exec, exec, s[24:25]
	global_load_dwordx2 v[2:3], v28, s[36:37] offset:16
	s_mov_b64 s[26:27], exec
	v_mbcnt_lo_u32_b32 v4, s26, 0
	v_mbcnt_hi_u32_b32 v4, s27, v4
	v_cmp_eq_u32_e32 vcc, 0, v4
	s_and_saveexec_b64 s[24:25], vcc
	s_cbranch_execz .LBB4_1107
; %bb.1106:                             ;   in Loop: Header=BB4_1038 Depth=1
	s_bcnt1_i32_b64 s15, s[26:27]
	v_mov_b32_e32 v27, s15
	s_waitcnt vmcnt(0)
	global_atomic_add_x2 v[2:3], v[27:28], off offset:8
.LBB4_1107:                             ;   in Loop: Header=BB4_1038 Depth=1
	s_or_b64 exec, exec, s[24:25]
	s_waitcnt vmcnt(0)
	global_load_dwordx2 v[4:5], v[2:3], off offset:16
	s_waitcnt vmcnt(0)
	v_cmp_eq_u64_e32 vcc, 0, v[4:5]
	s_cbranch_vccnz .LBB4_1109
; %bb.1108:                             ;   in Loop: Header=BB4_1038 Depth=1
	global_load_dword v27, v[2:3], off offset:24
	s_waitcnt vmcnt(0)
	v_and_b32_e32 v2, 0xffffff, v27
	v_readfirstlane_b32 m0, v2
	global_store_dwordx2 v[4:5], v[27:28], off
	s_sendmsg sendmsg(MSG_INTERRUPT)
.LBB4_1109:                             ;   in Loop: Header=BB4_1038 Depth=1
	s_or_b64 exec, exec, s[22:23]
	v_add_co_u32_e32 v2, vcc, v26, v39
	v_addc_co_u32_e32 v3, vcc, 0, v32, vcc
	s_branch .LBB4_1113
.LBB4_1110:                             ;   in Loop: Header=BB4_1113 Depth=2
	s_or_b64 exec, exec, s[22:23]
	v_readfirstlane_b32 s15, v4
	s_cmp_eq_u32 s15, 0
	s_cbranch_scc1 .LBB4_1112
; %bb.1111:                             ;   in Loop: Header=BB4_1113 Depth=2
	s_sleep 1
	s_cbranch_execnz .LBB4_1113
	s_branch .LBB4_1115
.LBB4_1112:                             ;   in Loop: Header=BB4_1038 Depth=1
	s_branch .LBB4_1115
.LBB4_1113:                             ;   Parent Loop BB4_1038 Depth=1
                                        ; =>  This Inner Loop Header: Depth=2
	v_mov_b32_e32 v4, 1
	s_and_saveexec_b64 s[22:23], s[4:5]
	s_cbranch_execz .LBB4_1110
; %bb.1114:                             ;   in Loop: Header=BB4_1113 Depth=2
	global_load_dword v4, v[29:30], off offset:20 glc
	s_waitcnt vmcnt(0)
	buffer_wbinvl1_vol
	v_and_b32_e32 v4, 1, v4
	s_branch .LBB4_1110
.LBB4_1115:                             ;   in Loop: Header=BB4_1038 Depth=1
	global_load_dwordx4 v[2:5], v[2:3], off
	s_and_saveexec_b64 s[22:23], s[4:5]
	s_cbranch_execz .LBB4_1037
; %bb.1116:                             ;   in Loop: Header=BB4_1038 Depth=1
	global_load_dwordx2 v[4:5], v28, s[36:37] offset:40
	global_load_dwordx2 v[12:13], v28, s[36:37] offset:24 glc
	global_load_dwordx2 v[14:15], v28, s[36:37]
	v_mov_b32_e32 v9, s21
	s_waitcnt vmcnt(2)
	v_add_co_u32_e32 v10, vcc, 1, v4
	v_addc_co_u32_e32 v11, vcc, 0, v5, vcc
	v_add_co_u32_e32 v8, vcc, s20, v10
	v_addc_co_u32_e32 v9, vcc, v11, v9, vcc
	v_cmp_eq_u64_e32 vcc, 0, v[8:9]
	v_cndmask_b32_e32 v9, v9, v11, vcc
	v_cndmask_b32_e32 v8, v8, v10, vcc
	v_and_b32_e32 v5, v9, v5
	v_and_b32_e32 v4, v8, v4
	v_mul_lo_u32 v5, v5, 24
	v_mul_hi_u32 v11, v4, 24
	v_mul_lo_u32 v4, v4, 24
	s_waitcnt vmcnt(1)
	v_mov_b32_e32 v10, v12
	v_add_u32_e32 v5, v11, v5
	s_waitcnt vmcnt(0)
	v_add_co_u32_e32 v4, vcc, v14, v4
	v_addc_co_u32_e32 v5, vcc, v15, v5, vcc
	global_store_dwordx2 v[4:5], v[12:13], off
	v_mov_b32_e32 v11, v13
	s_waitcnt vmcnt(0)
	global_atomic_cmpswap_x2 v[10:11], v28, v[8:11], s[36:37] offset:24 glc
	s_waitcnt vmcnt(0)
	v_cmp_ne_u64_e32 vcc, v[10:11], v[12:13]
	s_and_b64 exec, exec, vcc
	s_cbranch_execz .LBB4_1037
; %bb.1117:                             ;   in Loop: Header=BB4_1038 Depth=1
	s_mov_b64 s[4:5], 0
.LBB4_1118:                             ;   Parent Loop BB4_1038 Depth=1
                                        ; =>  This Inner Loop Header: Depth=2
	s_sleep 1
	global_store_dwordx2 v[4:5], v[10:11], off
	s_waitcnt vmcnt(0)
	global_atomic_cmpswap_x2 v[12:13], v28, v[8:11], s[36:37] offset:24 glc
	s_waitcnt vmcnt(0)
	v_cmp_eq_u64_e32 vcc, v[12:13], v[10:11]
	v_mov_b32_e32 v10, v12
	s_or_b64 s[4:5], vcc, s[4:5]
	v_mov_b32_e32 v11, v13
	s_andn2_b64 exec, exec, s[4:5]
	s_cbranch_execnz .LBB4_1118
	s_branch .LBB4_1037
.LBB4_1119:
	s_branch .LBB4_1147
.LBB4_1120:
                                        ; implicit-def: $vgpr2_vgpr3
	s_cbranch_execz .LBB4_1147
; %bb.1121:
	v_readfirstlane_b32 s4, v50
	v_mov_b32_e32 v8, 0
	v_mov_b32_e32 v9, 0
	v_cmp_eq_u32_e64 s[4:5], s4, v50
	s_and_saveexec_b64 s[10:11], s[4:5]
	s_cbranch_execz .LBB4_1127
; %bb.1122:
	s_waitcnt vmcnt(0)
	v_mov_b32_e32 v2, 0
	global_load_dwordx2 v[5:6], v2, s[36:37] offset:24 glc
	s_waitcnt vmcnt(0)
	buffer_wbinvl1_vol
	global_load_dwordx2 v[3:4], v2, s[36:37] offset:40
	global_load_dwordx2 v[7:8], v2, s[36:37]
	s_waitcnt vmcnt(1)
	v_and_b32_e32 v3, v3, v5
	v_and_b32_e32 v4, v4, v6
	v_mul_lo_u32 v4, v4, 24
	v_mul_hi_u32 v9, v3, 24
	v_mul_lo_u32 v3, v3, 24
	v_add_u32_e32 v4, v9, v4
	s_waitcnt vmcnt(0)
	v_add_co_u32_e32 v3, vcc, v7, v3
	v_addc_co_u32_e32 v4, vcc, v8, v4, vcc
	global_load_dwordx2 v[3:4], v[3:4], off glc
	s_waitcnt vmcnt(0)
	global_atomic_cmpswap_x2 v[8:9], v2, v[3:6], s[36:37] offset:24 glc
	s_waitcnt vmcnt(0)
	buffer_wbinvl1_vol
	v_cmp_ne_u64_e32 vcc, v[8:9], v[5:6]
	s_and_saveexec_b64 s[16:17], vcc
	s_cbranch_execz .LBB4_1126
; %bb.1123:
	s_mov_b64 s[18:19], 0
.LBB4_1124:                             ; =>This Inner Loop Header: Depth=1
	s_sleep 1
	global_load_dwordx2 v[3:4], v2, s[36:37] offset:40
	global_load_dwordx2 v[10:11], v2, s[36:37]
	v_mov_b32_e32 v5, v8
	v_mov_b32_e32 v6, v9
	s_waitcnt vmcnt(1)
	v_and_b32_e32 v3, v3, v5
	s_waitcnt vmcnt(0)
	v_mad_u64_u32 v[7:8], s[20:21], v3, 24, v[10:11]
	v_and_b32_e32 v4, v4, v6
	v_mov_b32_e32 v3, v8
	v_mad_u64_u32 v[3:4], s[20:21], v4, 24, v[3:4]
	v_mov_b32_e32 v8, v3
	global_load_dwordx2 v[3:4], v[7:8], off glc
	s_waitcnt vmcnt(0)
	global_atomic_cmpswap_x2 v[8:9], v2, v[3:6], s[36:37] offset:24 glc
	s_waitcnt vmcnt(0)
	buffer_wbinvl1_vol
	v_cmp_eq_u64_e32 vcc, v[8:9], v[5:6]
	s_or_b64 s[18:19], vcc, s[18:19]
	s_andn2_b64 exec, exec, s[18:19]
	s_cbranch_execnz .LBB4_1124
; %bb.1125:
	s_or_b64 exec, exec, s[18:19]
.LBB4_1126:
	s_or_b64 exec, exec, s[16:17]
.LBB4_1127:
	s_or_b64 exec, exec, s[10:11]
	s_waitcnt vmcnt(0)
	v_mov_b32_e32 v2, 0
	global_load_dwordx2 v[10:11], v2, s[36:37] offset:40
	global_load_dwordx4 v[4:7], v2, s[36:37]
	v_readfirstlane_b32 s10, v8
	v_readfirstlane_b32 s11, v9
	s_mov_b64 s[16:17], exec
	s_waitcnt vmcnt(1)
	v_readfirstlane_b32 s18, v10
	v_readfirstlane_b32 s19, v11
	s_and_b64 s[18:19], s[10:11], s[18:19]
	s_mul_i32 s15, s19, 24
	s_mul_hi_u32 s20, s18, 24
	s_mul_i32 s21, s18, 24
	s_add_i32 s15, s20, s15
	v_mov_b32_e32 v3, s15
	s_waitcnt vmcnt(0)
	v_add_co_u32_e32 v8, vcc, s21, v4
	v_addc_co_u32_e32 v9, vcc, v5, v3, vcc
	s_and_saveexec_b64 s[20:21], s[4:5]
	s_cbranch_execz .LBB4_1129
; %bb.1128:
	v_mov_b32_e32 v10, s16
	v_mov_b32_e32 v11, s17
	;; [unrolled: 1-line block ×4, first 2 shown]
	global_store_dwordx4 v[8:9], v[10:13], off offset:8
.LBB4_1129:
	s_or_b64 exec, exec, s[20:21]
	s_lshl_b64 s[16:17], s[18:19], 12
	v_mov_b32_e32 v3, s17
	v_add_co_u32_e32 v10, vcc, s16, v6
	v_addc_co_u32_e32 v11, vcc, v7, v3, vcc
	s_movk_i32 s15, 0xff1f
	v_and_or_b32 v0, v0, s15, 32
	s_mov_b32 s16, 0
	v_mov_b32_e32 v3, v2
	v_readfirstlane_b32 s20, v10
	v_readfirstlane_b32 s21, v11
	v_add_co_u32_e32 v6, vcc, v10, v39
	s_mov_b32 s17, s16
	s_mov_b32 s18, s16
	;; [unrolled: 1-line block ×3, first 2 shown]
	s_nop 0
	global_store_dwordx4 v39, v[0:3], s[20:21]
	v_addc_co_u32_e32 v7, vcc, 0, v11, vcc
	v_mov_b32_e32 v0, s16
	v_mov_b32_e32 v1, s17
	;; [unrolled: 1-line block ×4, first 2 shown]
	global_store_dwordx4 v39, v[0:3], s[20:21] offset:16
	global_store_dwordx4 v39, v[0:3], s[20:21] offset:32
	;; [unrolled: 1-line block ×3, first 2 shown]
	s_and_saveexec_b64 s[16:17], s[4:5]
	s_cbranch_execz .LBB4_1137
; %bb.1130:
	v_mov_b32_e32 v10, 0
	global_load_dwordx2 v[13:14], v10, s[36:37] offset:32 glc
	global_load_dwordx2 v[0:1], v10, s[36:37] offset:40
	v_mov_b32_e32 v11, s10
	v_mov_b32_e32 v12, s11
	s_waitcnt vmcnt(0)
	v_readfirstlane_b32 s18, v0
	v_readfirstlane_b32 s19, v1
	s_and_b64 s[18:19], s[18:19], s[10:11]
	s_mul_i32 s15, s19, 24
	s_mul_hi_u32 s19, s18, 24
	s_mul_i32 s18, s18, 24
	s_add_i32 s15, s19, s15
	v_mov_b32_e32 v0, s15
	v_add_co_u32_e32 v4, vcc, s18, v4
	v_addc_co_u32_e32 v5, vcc, v5, v0, vcc
	global_store_dwordx2 v[4:5], v[13:14], off
	s_waitcnt vmcnt(0)
	global_atomic_cmpswap_x2 v[2:3], v10, v[11:14], s[36:37] offset:32 glc
	s_waitcnt vmcnt(0)
	v_cmp_ne_u64_e32 vcc, v[2:3], v[13:14]
	s_and_saveexec_b64 s[18:19], vcc
	s_cbranch_execz .LBB4_1133
; %bb.1131:
	s_mov_b64 s[20:21], 0
.LBB4_1132:                             ; =>This Inner Loop Header: Depth=1
	s_sleep 1
	global_store_dwordx2 v[4:5], v[2:3], off
	v_mov_b32_e32 v0, s10
	v_mov_b32_e32 v1, s11
	s_waitcnt vmcnt(0)
	global_atomic_cmpswap_x2 v[0:1], v10, v[0:3], s[36:37] offset:32 glc
	s_waitcnt vmcnt(0)
	v_cmp_eq_u64_e32 vcc, v[0:1], v[2:3]
	v_mov_b32_e32 v3, v1
	s_or_b64 s[20:21], vcc, s[20:21]
	v_mov_b32_e32 v2, v0
	s_andn2_b64 exec, exec, s[20:21]
	s_cbranch_execnz .LBB4_1132
.LBB4_1133:
	s_or_b64 exec, exec, s[18:19]
	v_mov_b32_e32 v3, 0
	global_load_dwordx2 v[0:1], v3, s[36:37] offset:16
	s_mov_b64 s[18:19], exec
	v_mbcnt_lo_u32_b32 v2, s18, 0
	v_mbcnt_hi_u32_b32 v2, s19, v2
	v_cmp_eq_u32_e32 vcc, 0, v2
	s_and_saveexec_b64 s[20:21], vcc
	s_cbranch_execz .LBB4_1135
; %bb.1134:
	s_bcnt1_i32_b64 s15, s[18:19]
	v_mov_b32_e32 v2, s15
	s_waitcnt vmcnt(0)
	global_atomic_add_x2 v[0:1], v[2:3], off offset:8
.LBB4_1135:
	s_or_b64 exec, exec, s[20:21]
	s_waitcnt vmcnt(0)
	global_load_dwordx2 v[2:3], v[0:1], off offset:16
	s_waitcnt vmcnt(0)
	v_cmp_eq_u64_e32 vcc, 0, v[2:3]
	s_cbranch_vccnz .LBB4_1137
; %bb.1136:
	global_load_dword v0, v[0:1], off offset:24
	v_mov_b32_e32 v1, 0
	s_waitcnt vmcnt(0)
	global_store_dwordx2 v[2:3], v[0:1], off
	v_and_b32_e32 v0, 0xffffff, v0
	v_readfirstlane_b32 m0, v0
	s_sendmsg sendmsg(MSG_INTERRUPT)
.LBB4_1137:
	s_or_b64 exec, exec, s[16:17]
	s_branch .LBB4_1141
.LBB4_1138:                             ;   in Loop: Header=BB4_1141 Depth=1
	s_or_b64 exec, exec, s[16:17]
	v_readfirstlane_b32 s15, v0
	s_cmp_eq_u32 s15, 0
	s_cbranch_scc1 .LBB4_1140
; %bb.1139:                             ;   in Loop: Header=BB4_1141 Depth=1
	s_sleep 1
	s_cbranch_execnz .LBB4_1141
	s_branch .LBB4_1143
.LBB4_1140:
	s_branch .LBB4_1143
.LBB4_1141:                             ; =>This Inner Loop Header: Depth=1
	v_mov_b32_e32 v0, 1
	s_and_saveexec_b64 s[16:17], s[4:5]
	s_cbranch_execz .LBB4_1138
; %bb.1142:                             ;   in Loop: Header=BB4_1141 Depth=1
	global_load_dword v0, v[8:9], off offset:20 glc
	s_waitcnt vmcnt(0)
	buffer_wbinvl1_vol
	v_and_b32_e32 v0, 1, v0
	s_branch .LBB4_1138
.LBB4_1143:
	global_load_dwordx2 v[2:3], v[6:7], off
	s_and_saveexec_b64 s[16:17], s[4:5]
	s_cbranch_execz .LBB4_1146
; %bb.1144:
	v_mov_b32_e32 v8, 0
	global_load_dwordx2 v[0:1], v8, s[36:37] offset:40
	global_load_dwordx2 v[9:10], v8, s[36:37] offset:24 glc
	global_load_dwordx2 v[11:12], v8, s[36:37]
	v_mov_b32_e32 v5, s11
	s_mov_b64 s[4:5], 0
	s_waitcnt vmcnt(2)
	v_add_co_u32_e32 v6, vcc, 1, v0
	v_addc_co_u32_e32 v7, vcc, 0, v1, vcc
	v_add_co_u32_e32 v4, vcc, s10, v6
	v_addc_co_u32_e32 v5, vcc, v7, v5, vcc
	v_cmp_eq_u64_e32 vcc, 0, v[4:5]
	v_cndmask_b32_e32 v5, v5, v7, vcc
	v_cndmask_b32_e32 v4, v4, v6, vcc
	v_and_b32_e32 v1, v5, v1
	v_and_b32_e32 v0, v4, v0
	v_mul_lo_u32 v1, v1, 24
	v_mul_hi_u32 v7, v0, 24
	v_mul_lo_u32 v0, v0, 24
	s_waitcnt vmcnt(1)
	v_mov_b32_e32 v6, v9
	v_add_u32_e32 v1, v7, v1
	s_waitcnt vmcnt(0)
	v_add_co_u32_e32 v0, vcc, v11, v0
	v_addc_co_u32_e32 v1, vcc, v12, v1, vcc
	global_store_dwordx2 v[0:1], v[9:10], off
	v_mov_b32_e32 v7, v10
	s_waitcnt vmcnt(0)
	global_atomic_cmpswap_x2 v[6:7], v8, v[4:7], s[36:37] offset:24 glc
	s_waitcnt vmcnt(0)
	v_cmp_ne_u64_e32 vcc, v[6:7], v[9:10]
	s_and_b64 exec, exec, vcc
	s_cbranch_execz .LBB4_1146
.LBB4_1145:                             ; =>This Inner Loop Header: Depth=1
	s_sleep 1
	global_store_dwordx2 v[0:1], v[6:7], off
	s_waitcnt vmcnt(0)
	global_atomic_cmpswap_x2 v[9:10], v8, v[4:7], s[36:37] offset:24 glc
	s_waitcnt vmcnt(0)
	v_cmp_eq_u64_e32 vcc, v[9:10], v[6:7]
	v_mov_b32_e32 v6, v9
	s_or_b64 s[4:5], vcc, s[4:5]
	v_mov_b32_e32 v7, v10
	s_andn2_b64 exec, exec, s[4:5]
	s_cbranch_execnz .LBB4_1145
.LBB4_1146:
	s_or_b64 exec, exec, s[16:17]
.LBB4_1147:
	v_readfirstlane_b32 s4, v50
	s_waitcnt vmcnt(0)
	v_mov_b32_e32 v0, 0
	v_mov_b32_e32 v1, 0
	v_cmp_eq_u32_e64 s[4:5], s4, v50
	s_and_saveexec_b64 s[10:11], s[4:5]
	s_cbranch_execz .LBB4_1153
; %bb.1148:
	v_mov_b32_e32 v4, 0
	global_load_dwordx2 v[7:8], v4, s[36:37] offset:24 glc
	s_waitcnt vmcnt(0)
	buffer_wbinvl1_vol
	global_load_dwordx2 v[0:1], v4, s[36:37] offset:40
	global_load_dwordx2 v[5:6], v4, s[36:37]
	s_waitcnt vmcnt(1)
	v_and_b32_e32 v0, v0, v7
	v_and_b32_e32 v1, v1, v8
	v_mul_lo_u32 v1, v1, 24
	v_mul_hi_u32 v9, v0, 24
	v_mul_lo_u32 v0, v0, 24
	v_add_u32_e32 v1, v9, v1
	s_waitcnt vmcnt(0)
	v_add_co_u32_e32 v0, vcc, v5, v0
	v_addc_co_u32_e32 v1, vcc, v6, v1, vcc
	global_load_dwordx2 v[5:6], v[0:1], off glc
	s_waitcnt vmcnt(0)
	global_atomic_cmpswap_x2 v[0:1], v4, v[5:8], s[36:37] offset:24 glc
	s_waitcnt vmcnt(0)
	buffer_wbinvl1_vol
	v_cmp_ne_u64_e32 vcc, v[0:1], v[7:8]
	s_and_saveexec_b64 s[16:17], vcc
	s_cbranch_execz .LBB4_1152
; %bb.1149:
	s_mov_b64 s[18:19], 0
.LBB4_1150:                             ; =>This Inner Loop Header: Depth=1
	s_sleep 1
	global_load_dwordx2 v[5:6], v4, s[36:37] offset:40
	global_load_dwordx2 v[9:10], v4, s[36:37]
	v_mov_b32_e32 v8, v1
	v_mov_b32_e32 v7, v0
	s_waitcnt vmcnt(1)
	v_and_b32_e32 v0, v5, v7
	s_waitcnt vmcnt(0)
	v_mad_u64_u32 v[0:1], s[20:21], v0, 24, v[9:10]
	v_and_b32_e32 v5, v6, v8
	v_mad_u64_u32 v[5:6], s[20:21], v5, 24, v[1:2]
	v_mov_b32_e32 v1, v5
	global_load_dwordx2 v[5:6], v[0:1], off glc
	s_waitcnt vmcnt(0)
	global_atomic_cmpswap_x2 v[0:1], v4, v[5:8], s[36:37] offset:24 glc
	s_waitcnt vmcnt(0)
	buffer_wbinvl1_vol
	v_cmp_eq_u64_e32 vcc, v[0:1], v[7:8]
	s_or_b64 s[18:19], vcc, s[18:19]
	s_andn2_b64 exec, exec, s[18:19]
	s_cbranch_execnz .LBB4_1150
; %bb.1151:
	s_or_b64 exec, exec, s[18:19]
.LBB4_1152:
	s_or_b64 exec, exec, s[16:17]
.LBB4_1153:
	s_or_b64 exec, exec, s[10:11]
	v_mov_b32_e32 v5, 0
	global_load_dwordx2 v[10:11], v5, s[36:37] offset:40
	global_load_dwordx4 v[6:9], v5, s[36:37]
	v_readfirstlane_b32 s10, v0
	v_readfirstlane_b32 s11, v1
	s_mov_b64 s[16:17], exec
	s_waitcnt vmcnt(1)
	v_readfirstlane_b32 s18, v10
	v_readfirstlane_b32 s19, v11
	s_and_b64 s[18:19], s[10:11], s[18:19]
	s_mul_i32 s15, s19, 24
	s_mul_hi_u32 s20, s18, 24
	s_mul_i32 s21, s18, 24
	s_add_i32 s15, s20, s15
	v_mov_b32_e32 v0, s15
	s_waitcnt vmcnt(0)
	v_add_co_u32_e32 v10, vcc, s21, v6
	v_addc_co_u32_e32 v11, vcc, v7, v0, vcc
	s_and_saveexec_b64 s[20:21], s[4:5]
	s_cbranch_execz .LBB4_1155
; %bb.1154:
	v_mov_b32_e32 v12, s16
	v_mov_b32_e32 v13, s17
	;; [unrolled: 1-line block ×4, first 2 shown]
	global_store_dwordx4 v[10:11], v[12:15], off offset:8
.LBB4_1155:
	s_or_b64 exec, exec, s[20:21]
	s_lshl_b64 s[16:17], s[18:19], 12
	v_mov_b32_e32 v0, s17
	v_add_co_u32_e32 v1, vcc, s16, v8
	v_addc_co_u32_e32 v0, vcc, v9, v0, vcc
	s_movk_i32 s15, 0xff1d
	v_and_or_b32 v2, v2, s15, 34
	s_mov_b32 s16, 0
	v_mov_b32_e32 v4, 58
	v_readfirstlane_b32 s20, v1
	v_readfirstlane_b32 s21, v0
	s_mov_b32 s17, s16
	s_mov_b32 s18, s16
	;; [unrolled: 1-line block ×3, first 2 shown]
	s_nop 1
	global_store_dwordx4 v39, v[2:5], s[20:21]
	v_mov_b32_e32 v0, s16
	v_mov_b32_e32 v1, s17
	;; [unrolled: 1-line block ×4, first 2 shown]
	global_store_dwordx4 v39, v[0:3], s[20:21] offset:16
	global_store_dwordx4 v39, v[0:3], s[20:21] offset:32
	;; [unrolled: 1-line block ×3, first 2 shown]
	s_and_saveexec_b64 s[16:17], s[4:5]
	s_cbranch_execz .LBB4_1163
; %bb.1156:
	v_mov_b32_e32 v8, 0
	global_load_dwordx2 v[14:15], v8, s[36:37] offset:32 glc
	global_load_dwordx2 v[0:1], v8, s[36:37] offset:40
	v_mov_b32_e32 v12, s10
	v_mov_b32_e32 v13, s11
	s_waitcnt vmcnt(0)
	v_readfirstlane_b32 s18, v0
	v_readfirstlane_b32 s19, v1
	s_and_b64 s[18:19], s[18:19], s[10:11]
	s_mul_i32 s15, s19, 24
	s_mul_hi_u32 s19, s18, 24
	s_mul_i32 s18, s18, 24
	s_add_i32 s15, s19, s15
	v_mov_b32_e32 v0, s15
	v_add_co_u32_e32 v4, vcc, s18, v6
	v_addc_co_u32_e32 v5, vcc, v7, v0, vcc
	global_store_dwordx2 v[4:5], v[14:15], off
	s_waitcnt vmcnt(0)
	global_atomic_cmpswap_x2 v[2:3], v8, v[12:15], s[36:37] offset:32 glc
	s_waitcnt vmcnt(0)
	v_cmp_ne_u64_e32 vcc, v[2:3], v[14:15]
	s_and_saveexec_b64 s[18:19], vcc
	s_cbranch_execz .LBB4_1159
; %bb.1157:
	s_mov_b64 s[20:21], 0
.LBB4_1158:                             ; =>This Inner Loop Header: Depth=1
	s_sleep 1
	global_store_dwordx2 v[4:5], v[2:3], off
	v_mov_b32_e32 v0, s10
	v_mov_b32_e32 v1, s11
	s_waitcnt vmcnt(0)
	global_atomic_cmpswap_x2 v[0:1], v8, v[0:3], s[36:37] offset:32 glc
	s_waitcnt vmcnt(0)
	v_cmp_eq_u64_e32 vcc, v[0:1], v[2:3]
	v_mov_b32_e32 v3, v1
	s_or_b64 s[20:21], vcc, s[20:21]
	v_mov_b32_e32 v2, v0
	s_andn2_b64 exec, exec, s[20:21]
	s_cbranch_execnz .LBB4_1158
.LBB4_1159:
	s_or_b64 exec, exec, s[18:19]
	v_mov_b32_e32 v3, 0
	global_load_dwordx2 v[0:1], v3, s[36:37] offset:16
	s_mov_b64 s[18:19], exec
	v_mbcnt_lo_u32_b32 v2, s18, 0
	v_mbcnt_hi_u32_b32 v2, s19, v2
	v_cmp_eq_u32_e32 vcc, 0, v2
	s_and_saveexec_b64 s[20:21], vcc
	s_cbranch_execz .LBB4_1161
; %bb.1160:
	s_bcnt1_i32_b64 s15, s[18:19]
	v_mov_b32_e32 v2, s15
	s_waitcnt vmcnt(0)
	global_atomic_add_x2 v[0:1], v[2:3], off offset:8
.LBB4_1161:
	s_or_b64 exec, exec, s[20:21]
	s_waitcnt vmcnt(0)
	global_load_dwordx2 v[2:3], v[0:1], off offset:16
	s_waitcnt vmcnt(0)
	v_cmp_eq_u64_e32 vcc, 0, v[2:3]
	s_cbranch_vccnz .LBB4_1163
; %bb.1162:
	global_load_dword v0, v[0:1], off offset:24
	v_mov_b32_e32 v1, 0
	s_waitcnt vmcnt(0)
	global_store_dwordx2 v[2:3], v[0:1], off
	v_and_b32_e32 v0, 0xffffff, v0
	v_readfirstlane_b32 m0, v0
	s_sendmsg sendmsg(MSG_INTERRUPT)
.LBB4_1163:
	s_or_b64 exec, exec, s[16:17]
	s_branch .LBB4_1167
.LBB4_1164:                             ;   in Loop: Header=BB4_1167 Depth=1
	s_or_b64 exec, exec, s[16:17]
	v_readfirstlane_b32 s15, v0
	s_cmp_eq_u32 s15, 0
	s_cbranch_scc1 .LBB4_1166
; %bb.1165:                             ;   in Loop: Header=BB4_1167 Depth=1
	s_sleep 1
	s_cbranch_execnz .LBB4_1167
	s_branch .LBB4_1169
.LBB4_1166:
	s_branch .LBB4_1169
.LBB4_1167:                             ; =>This Inner Loop Header: Depth=1
	v_mov_b32_e32 v0, 1
	s_and_saveexec_b64 s[16:17], s[4:5]
	s_cbranch_execz .LBB4_1164
; %bb.1168:                             ;   in Loop: Header=BB4_1167 Depth=1
	global_load_dword v0, v[10:11], off offset:20 glc
	s_waitcnt vmcnt(0)
	buffer_wbinvl1_vol
	v_and_b32_e32 v0, 1, v0
	s_branch .LBB4_1164
.LBB4_1169:
	s_and_saveexec_b64 s[16:17], s[4:5]
	s_cbranch_execz .LBB4_1172
; %bb.1170:
	v_mov_b32_e32 v6, 0
	global_load_dwordx2 v[2:3], v6, s[36:37] offset:40
	global_load_dwordx2 v[7:8], v6, s[36:37] offset:24 glc
	global_load_dwordx2 v[4:5], v6, s[36:37]
	v_mov_b32_e32 v1, s11
	s_mov_b64 s[4:5], 0
	s_waitcnt vmcnt(2)
	v_add_co_u32_e32 v9, vcc, 1, v2
	v_addc_co_u32_e32 v10, vcc, 0, v3, vcc
	v_add_co_u32_e32 v0, vcc, s10, v9
	v_addc_co_u32_e32 v1, vcc, v10, v1, vcc
	v_cmp_eq_u64_e32 vcc, 0, v[0:1]
	v_cndmask_b32_e32 v1, v1, v10, vcc
	v_cndmask_b32_e32 v0, v0, v9, vcc
	v_and_b32_e32 v3, v1, v3
	v_and_b32_e32 v2, v0, v2
	v_mul_lo_u32 v3, v3, 24
	v_mul_hi_u32 v9, v2, 24
	v_mul_lo_u32 v10, v2, 24
	s_waitcnt vmcnt(1)
	v_mov_b32_e32 v2, v7
	v_add_u32_e32 v3, v9, v3
	s_waitcnt vmcnt(0)
	v_add_co_u32_e32 v4, vcc, v4, v10
	v_addc_co_u32_e32 v5, vcc, v5, v3, vcc
	global_store_dwordx2 v[4:5], v[7:8], off
	v_mov_b32_e32 v3, v8
	s_waitcnt vmcnt(0)
	global_atomic_cmpswap_x2 v[2:3], v6, v[0:3], s[36:37] offset:24 glc
	s_waitcnt vmcnt(0)
	v_cmp_ne_u64_e32 vcc, v[2:3], v[7:8]
	s_and_b64 exec, exec, vcc
	s_cbranch_execz .LBB4_1172
.LBB4_1171:                             ; =>This Inner Loop Header: Depth=1
	s_sleep 1
	global_store_dwordx2 v[4:5], v[2:3], off
	s_waitcnt vmcnt(0)
	global_atomic_cmpswap_x2 v[7:8], v6, v[0:3], s[36:37] offset:24 glc
	s_waitcnt vmcnt(0)
	v_cmp_eq_u64_e32 vcc, v[7:8], v[2:3]
	v_mov_b32_e32 v2, v7
	s_or_b64 s[4:5], vcc, s[4:5]
	v_mov_b32_e32 v3, v8
	s_andn2_b64 exec, exec, s[4:5]
	s_cbranch_execnz .LBB4_1171
.LBB4_1172:
	s_or_b64 exec, exec, s[16:17]
	v_readfirstlane_b32 s4, v50
	v_mov_b32_e32 v5, 0
	v_mov_b32_e32 v6, 0
	v_cmp_eq_u32_e64 s[4:5], s4, v50
	s_and_saveexec_b64 s[10:11], s[4:5]
	s_cbranch_execz .LBB4_1178
; %bb.1173:
	v_mov_b32_e32 v0, 0
	global_load_dwordx2 v[3:4], v0, s[36:37] offset:24 glc
	s_waitcnt vmcnt(0)
	buffer_wbinvl1_vol
	global_load_dwordx2 v[1:2], v0, s[36:37] offset:40
	global_load_dwordx2 v[5:6], v0, s[36:37]
	s_waitcnt vmcnt(1)
	v_and_b32_e32 v1, v1, v3
	v_and_b32_e32 v2, v2, v4
	v_mul_lo_u32 v2, v2, 24
	v_mul_hi_u32 v7, v1, 24
	v_mul_lo_u32 v1, v1, 24
	v_add_u32_e32 v2, v7, v2
	s_waitcnt vmcnt(0)
	v_add_co_u32_e32 v1, vcc, v5, v1
	v_addc_co_u32_e32 v2, vcc, v6, v2, vcc
	global_load_dwordx2 v[1:2], v[1:2], off glc
	s_waitcnt vmcnt(0)
	global_atomic_cmpswap_x2 v[5:6], v0, v[1:4], s[36:37] offset:24 glc
	s_waitcnt vmcnt(0)
	buffer_wbinvl1_vol
	v_cmp_ne_u64_e32 vcc, v[5:6], v[3:4]
	s_and_saveexec_b64 s[16:17], vcc
	s_cbranch_execz .LBB4_1177
; %bb.1174:
	s_mov_b64 s[18:19], 0
.LBB4_1175:                             ; =>This Inner Loop Header: Depth=1
	s_sleep 1
	global_load_dwordx2 v[1:2], v0, s[36:37] offset:40
	global_load_dwordx2 v[7:8], v0, s[36:37]
	v_mov_b32_e32 v3, v5
	v_mov_b32_e32 v4, v6
	s_waitcnt vmcnt(1)
	v_and_b32_e32 v1, v1, v3
	s_waitcnt vmcnt(0)
	v_mad_u64_u32 v[5:6], s[20:21], v1, 24, v[7:8]
	v_and_b32_e32 v2, v2, v4
	v_mov_b32_e32 v1, v6
	v_mad_u64_u32 v[1:2], s[20:21], v2, 24, v[1:2]
	v_mov_b32_e32 v6, v1
	global_load_dwordx2 v[1:2], v[5:6], off glc
	s_waitcnt vmcnt(0)
	global_atomic_cmpswap_x2 v[5:6], v0, v[1:4], s[36:37] offset:24 glc
	s_waitcnt vmcnt(0)
	buffer_wbinvl1_vol
	v_cmp_eq_u64_e32 vcc, v[5:6], v[3:4]
	s_or_b64 s[18:19], vcc, s[18:19]
	s_andn2_b64 exec, exec, s[18:19]
	s_cbranch_execnz .LBB4_1175
; %bb.1176:
	s_or_b64 exec, exec, s[18:19]
.LBB4_1177:
	s_or_b64 exec, exec, s[16:17]
.LBB4_1178:
	s_or_b64 exec, exec, s[10:11]
	v_mov_b32_e32 v4, 0
	global_load_dwordx2 v[7:8], v4, s[36:37] offset:40
	global_load_dwordx4 v[0:3], v4, s[36:37]
	v_readfirstlane_b32 s10, v5
	v_readfirstlane_b32 s11, v6
	s_mov_b64 s[16:17], exec
	s_waitcnt vmcnt(1)
	v_readfirstlane_b32 s18, v7
	v_readfirstlane_b32 s19, v8
	s_and_b64 s[18:19], s[10:11], s[18:19]
	s_mul_i32 s15, s19, 24
	s_mul_hi_u32 s20, s18, 24
	s_mul_i32 s21, s18, 24
	s_add_i32 s15, s20, s15
	v_mov_b32_e32 v5, s15
	s_waitcnt vmcnt(0)
	v_add_co_u32_e32 v7, vcc, s21, v0
	v_addc_co_u32_e32 v8, vcc, v1, v5, vcc
	s_and_saveexec_b64 s[20:21], s[4:5]
	s_cbranch_execz .LBB4_1180
; %bb.1179:
	v_mov_b32_e32 v9, s16
	v_mov_b32_e32 v10, s17
	;; [unrolled: 1-line block ×4, first 2 shown]
	global_store_dwordx4 v[7:8], v[9:12], off offset:8
.LBB4_1180:
	s_or_b64 exec, exec, s[20:21]
	s_lshl_b64 s[16:17], s[18:19], 12
	v_mov_b32_e32 v5, s17
	v_add_co_u32_e32 v2, vcc, s16, v2
	v_addc_co_u32_e32 v11, vcc, v3, v5, vcc
	s_mov_b32 s16, 0
	v_mov_b32_e32 v3, 33
	v_mov_b32_e32 v5, v4
	;; [unrolled: 1-line block ×3, first 2 shown]
	v_readfirstlane_b32 s20, v2
	v_readfirstlane_b32 s21, v11
	v_add_co_u32_e32 v9, vcc, v2, v39
	s_mov_b32 s17, s16
	s_mov_b32 s18, s16
	;; [unrolled: 1-line block ×3, first 2 shown]
	s_nop 0
	global_store_dwordx4 v39, v[3:6], s[20:21]
	v_mov_b32_e32 v2, s16
	v_addc_co_u32_e32 v10, vcc, 0, v11, vcc
	v_mov_b32_e32 v3, s17
	v_mov_b32_e32 v4, s18
	;; [unrolled: 1-line block ×3, first 2 shown]
	global_store_dwordx4 v39, v[2:5], s[20:21] offset:16
	global_store_dwordx4 v39, v[2:5], s[20:21] offset:32
	;; [unrolled: 1-line block ×3, first 2 shown]
	s_and_saveexec_b64 s[16:17], s[4:5]
	s_cbranch_execz .LBB4_1188
; %bb.1181:
	v_mov_b32_e32 v6, 0
	global_load_dwordx2 v[13:14], v6, s[36:37] offset:32 glc
	global_load_dwordx2 v[2:3], v6, s[36:37] offset:40
	v_mov_b32_e32 v11, s10
	v_mov_b32_e32 v12, s11
	s_waitcnt vmcnt(0)
	v_readfirstlane_b32 s18, v2
	v_readfirstlane_b32 s19, v3
	s_and_b64 s[18:19], s[18:19], s[10:11]
	s_mul_i32 s15, s19, 24
	s_mul_hi_u32 s19, s18, 24
	s_mul_i32 s18, s18, 24
	s_add_i32 s15, s19, s15
	v_mov_b32_e32 v2, s15
	v_add_co_u32_e32 v4, vcc, s18, v0
	v_addc_co_u32_e32 v5, vcc, v1, v2, vcc
	global_store_dwordx2 v[4:5], v[13:14], off
	s_waitcnt vmcnt(0)
	global_atomic_cmpswap_x2 v[2:3], v6, v[11:14], s[36:37] offset:32 glc
	s_waitcnt vmcnt(0)
	v_cmp_ne_u64_e32 vcc, v[2:3], v[13:14]
	s_and_saveexec_b64 s[18:19], vcc
	s_cbranch_execz .LBB4_1184
; %bb.1182:
	s_mov_b64 s[20:21], 0
.LBB4_1183:                             ; =>This Inner Loop Header: Depth=1
	s_sleep 1
	global_store_dwordx2 v[4:5], v[2:3], off
	v_mov_b32_e32 v0, s10
	v_mov_b32_e32 v1, s11
	s_waitcnt vmcnt(0)
	global_atomic_cmpswap_x2 v[0:1], v6, v[0:3], s[36:37] offset:32 glc
	s_waitcnt vmcnt(0)
	v_cmp_eq_u64_e32 vcc, v[0:1], v[2:3]
	v_mov_b32_e32 v3, v1
	s_or_b64 s[20:21], vcc, s[20:21]
	v_mov_b32_e32 v2, v0
	s_andn2_b64 exec, exec, s[20:21]
	s_cbranch_execnz .LBB4_1183
.LBB4_1184:
	s_or_b64 exec, exec, s[18:19]
	v_mov_b32_e32 v3, 0
	global_load_dwordx2 v[0:1], v3, s[36:37] offset:16
	s_mov_b64 s[18:19], exec
	v_mbcnt_lo_u32_b32 v2, s18, 0
	v_mbcnt_hi_u32_b32 v2, s19, v2
	v_cmp_eq_u32_e32 vcc, 0, v2
	s_and_saveexec_b64 s[20:21], vcc
	s_cbranch_execz .LBB4_1186
; %bb.1185:
	s_bcnt1_i32_b64 s15, s[18:19]
	v_mov_b32_e32 v2, s15
	s_waitcnt vmcnt(0)
	global_atomic_add_x2 v[0:1], v[2:3], off offset:8
.LBB4_1186:
	s_or_b64 exec, exec, s[20:21]
	s_waitcnt vmcnt(0)
	global_load_dwordx2 v[2:3], v[0:1], off offset:16
	s_waitcnt vmcnt(0)
	v_cmp_eq_u64_e32 vcc, 0, v[2:3]
	s_cbranch_vccnz .LBB4_1188
; %bb.1187:
	global_load_dword v0, v[0:1], off offset:24
	v_mov_b32_e32 v1, 0
	s_waitcnt vmcnt(0)
	global_store_dwordx2 v[2:3], v[0:1], off
	v_and_b32_e32 v0, 0xffffff, v0
	v_readfirstlane_b32 m0, v0
	s_sendmsg sendmsg(MSG_INTERRUPT)
.LBB4_1188:
	s_or_b64 exec, exec, s[16:17]
	s_branch .LBB4_1192
.LBB4_1189:                             ;   in Loop: Header=BB4_1192 Depth=1
	s_or_b64 exec, exec, s[16:17]
	v_readfirstlane_b32 s15, v0
	s_cmp_eq_u32 s15, 0
	s_cbranch_scc1 .LBB4_1191
; %bb.1190:                             ;   in Loop: Header=BB4_1192 Depth=1
	s_sleep 1
	s_cbranch_execnz .LBB4_1192
	s_branch .LBB4_1194
.LBB4_1191:
	s_branch .LBB4_1194
.LBB4_1192:                             ; =>This Inner Loop Header: Depth=1
	v_mov_b32_e32 v0, 1
	s_and_saveexec_b64 s[16:17], s[4:5]
	s_cbranch_execz .LBB4_1189
; %bb.1193:                             ;   in Loop: Header=BB4_1192 Depth=1
	global_load_dword v0, v[7:8], off offset:20 glc
	s_waitcnt vmcnt(0)
	buffer_wbinvl1_vol
	v_and_b32_e32 v0, 1, v0
	s_branch .LBB4_1189
.LBB4_1194:
	global_load_dwordx2 v[0:1], v[9:10], off
	s_and_saveexec_b64 s[16:17], s[4:5]
	s_cbranch_execz .LBB4_1197
; %bb.1195:
	v_mov_b32_e32 v8, 0
	global_load_dwordx2 v[4:5], v8, s[36:37] offset:40
	global_load_dwordx2 v[9:10], v8, s[36:37] offset:24 glc
	global_load_dwordx2 v[6:7], v8, s[36:37]
	v_mov_b32_e32 v3, s11
	s_mov_b64 s[4:5], 0
	s_waitcnt vmcnt(2)
	v_add_co_u32_e32 v11, vcc, 1, v4
	v_addc_co_u32_e32 v12, vcc, 0, v5, vcc
	v_add_co_u32_e32 v2, vcc, s10, v11
	v_addc_co_u32_e32 v3, vcc, v12, v3, vcc
	v_cmp_eq_u64_e32 vcc, 0, v[2:3]
	v_cndmask_b32_e32 v3, v3, v12, vcc
	v_cndmask_b32_e32 v2, v2, v11, vcc
	v_and_b32_e32 v5, v3, v5
	v_and_b32_e32 v4, v2, v4
	v_mul_lo_u32 v5, v5, 24
	v_mul_hi_u32 v11, v4, 24
	v_mul_lo_u32 v12, v4, 24
	s_waitcnt vmcnt(1)
	v_mov_b32_e32 v4, v9
	v_add_u32_e32 v5, v11, v5
	s_waitcnt vmcnt(0)
	v_add_co_u32_e32 v6, vcc, v6, v12
	v_addc_co_u32_e32 v7, vcc, v7, v5, vcc
	global_store_dwordx2 v[6:7], v[9:10], off
	v_mov_b32_e32 v5, v10
	s_waitcnt vmcnt(0)
	global_atomic_cmpswap_x2 v[4:5], v8, v[2:5], s[36:37] offset:24 glc
	s_waitcnt vmcnt(0)
	v_cmp_ne_u64_e32 vcc, v[4:5], v[9:10]
	s_and_b64 exec, exec, vcc
	s_cbranch_execz .LBB4_1197
.LBB4_1196:                             ; =>This Inner Loop Header: Depth=1
	s_sleep 1
	global_store_dwordx2 v[6:7], v[4:5], off
	s_waitcnt vmcnt(0)
	global_atomic_cmpswap_x2 v[9:10], v8, v[2:5], s[36:37] offset:24 glc
	s_waitcnt vmcnt(0)
	v_cmp_eq_u64_e32 vcc, v[9:10], v[4:5]
	v_mov_b32_e32 v4, v9
	s_or_b64 s[4:5], vcc, s[4:5]
	v_mov_b32_e32 v5, v10
	s_andn2_b64 exec, exec, s[4:5]
	s_cbranch_execnz .LBB4_1196
.LBB4_1197:
	s_or_b64 exec, exec, s[16:17]
	s_and_b64 vcc, exec, s[40:41]
	s_cbranch_vccz .LBB4_1282
; %bb.1198:
	s_waitcnt vmcnt(0)
	v_and_b32_e32 v31, 2, v0
	v_mov_b32_e32 v28, 0
	v_and_b32_e32 v2, -3, v0
	v_mov_b32_e32 v3, v1
	s_mov_b64 s[16:17], 3
	v_mov_b32_e32 v6, 2
	v_mov_b32_e32 v7, 1
	s_getpc_b64 s[10:11]
	s_add_u32 s10, s10, .str.6@rel32@lo+4
	s_addc_u32 s11, s11, .str.6@rel32@hi+12
	s_branch .LBB4_1200
.LBB4_1199:                             ;   in Loop: Header=BB4_1200 Depth=1
	s_or_b64 exec, exec, s[22:23]
	s_sub_u32 s16, s16, s18
	s_subb_u32 s17, s17, s19
	s_add_u32 s10, s10, s18
	s_addc_u32 s11, s11, s19
	s_cmp_lg_u64 s[16:17], 0
	s_cbranch_scc0 .LBB4_1281
.LBB4_1200:                             ; =>This Loop Header: Depth=1
                                        ;     Child Loop BB4_1203 Depth 2
                                        ;     Child Loop BB4_1210 Depth 2
                                        ;     Child Loop BB4_1218 Depth 2
                                        ;     Child Loop BB4_1226 Depth 2
                                        ;     Child Loop BB4_1234 Depth 2
                                        ;     Child Loop BB4_1242 Depth 2
                                        ;     Child Loop BB4_1250 Depth 2
                                        ;     Child Loop BB4_1258 Depth 2
                                        ;     Child Loop BB4_1266 Depth 2
                                        ;     Child Loop BB4_1275 Depth 2
                                        ;     Child Loop BB4_1280 Depth 2
	v_cmp_lt_u64_e64 s[4:5], s[16:17], 56
	v_cmp_gt_u64_e64 s[20:21], s[16:17], 7
	s_and_b64 s[4:5], s[4:5], exec
	s_cselect_b32 s19, s17, 0
	s_cselect_b32 s18, s16, 56
	s_and_b64 vcc, exec, s[20:21]
	s_cbranch_vccnz .LBB4_1205
; %bb.1201:                             ;   in Loop: Header=BB4_1200 Depth=1
	v_mov_b32_e32 v10, 0
	s_cmp_eq_u64 s[16:17], 0
	v_mov_b32_e32 v11, 0
	s_mov_b64 s[4:5], 0
	s_cbranch_scc1 .LBB4_1204
; %bb.1202:                             ;   in Loop: Header=BB4_1200 Depth=1
	v_mov_b32_e32 v10, 0
	s_lshl_b64 s[20:21], s[18:19], 3
	s_mov_b64 s[22:23], 0
	v_mov_b32_e32 v11, 0
	s_mov_b64 s[24:25], s[10:11]
.LBB4_1203:                             ;   Parent Loop BB4_1200 Depth=1
                                        ; =>  This Inner Loop Header: Depth=2
	global_load_ubyte v4, v28, s[24:25]
	s_waitcnt vmcnt(0)
	v_and_b32_e32 v27, 0xffff, v4
	v_lshlrev_b64 v[4:5], s22, v[27:28]
	s_add_u32 s22, s22, 8
	s_addc_u32 s23, s23, 0
	s_add_u32 s24, s24, 1
	s_addc_u32 s25, s25, 0
	v_or_b32_e32 v10, v4, v10
	s_cmp_lg_u32 s20, s22
	v_or_b32_e32 v11, v5, v11
	s_cbranch_scc1 .LBB4_1203
.LBB4_1204:                             ;   in Loop: Header=BB4_1200 Depth=1
	s_mov_b32 s15, 0
	s_andn2_b64 vcc, exec, s[4:5]
	s_mov_b64 s[4:5], s[10:11]
	s_cbranch_vccz .LBB4_1206
	s_branch .LBB4_1207
.LBB4_1205:                             ;   in Loop: Header=BB4_1200 Depth=1
                                        ; implicit-def: $vgpr10_vgpr11
                                        ; implicit-def: $sgpr15
	s_mov_b64 s[4:5], s[10:11]
.LBB4_1206:                             ;   in Loop: Header=BB4_1200 Depth=1
	global_load_dwordx2 v[10:11], v28, s[10:11]
	s_add_i32 s15, s18, -8
	s_add_u32 s4, s10, 8
	s_addc_u32 s5, s11, 0
.LBB4_1207:                             ;   in Loop: Header=BB4_1200 Depth=1
	s_cmp_gt_u32 s15, 7
	s_cbranch_scc1 .LBB4_1211
; %bb.1208:                             ;   in Loop: Header=BB4_1200 Depth=1
	s_cmp_eq_u32 s15, 0
	s_cbranch_scc1 .LBB4_1212
; %bb.1209:                             ;   in Loop: Header=BB4_1200 Depth=1
	v_mov_b32_e32 v12, 0
	s_mov_b64 s[20:21], 0
	v_mov_b32_e32 v13, 0
	s_mov_b64 s[22:23], 0
.LBB4_1210:                             ;   Parent Loop BB4_1200 Depth=1
                                        ; =>  This Inner Loop Header: Depth=2
	s_add_u32 s24, s4, s22
	s_addc_u32 s25, s5, s23
	global_load_ubyte v4, v28, s[24:25]
	s_add_u32 s22, s22, 1
	s_addc_u32 s23, s23, 0
	s_waitcnt vmcnt(0)
	v_and_b32_e32 v27, 0xffff, v4
	v_lshlrev_b64 v[4:5], s20, v[27:28]
	s_add_u32 s20, s20, 8
	s_addc_u32 s21, s21, 0
	v_or_b32_e32 v12, v4, v12
	s_cmp_lg_u32 s15, s22
	v_or_b32_e32 v13, v5, v13
	s_cbranch_scc1 .LBB4_1210
	s_branch .LBB4_1213
.LBB4_1211:                             ;   in Loop: Header=BB4_1200 Depth=1
                                        ; implicit-def: $vgpr12_vgpr13
                                        ; implicit-def: $sgpr24
	s_branch .LBB4_1214
.LBB4_1212:                             ;   in Loop: Header=BB4_1200 Depth=1
	v_mov_b32_e32 v12, 0
	v_mov_b32_e32 v13, 0
.LBB4_1213:                             ;   in Loop: Header=BB4_1200 Depth=1
	s_mov_b32 s24, 0
	s_cbranch_execnz .LBB4_1215
.LBB4_1214:                             ;   in Loop: Header=BB4_1200 Depth=1
	global_load_dwordx2 v[12:13], v28, s[4:5]
	s_add_i32 s24, s15, -8
	s_add_u32 s4, s4, 8
	s_addc_u32 s5, s5, 0
.LBB4_1215:                             ;   in Loop: Header=BB4_1200 Depth=1
	s_cmp_gt_u32 s24, 7
	s_cbranch_scc1 .LBB4_1219
; %bb.1216:                             ;   in Loop: Header=BB4_1200 Depth=1
	s_cmp_eq_u32 s24, 0
	s_cbranch_scc1 .LBB4_1220
; %bb.1217:                             ;   in Loop: Header=BB4_1200 Depth=1
	v_mov_b32_e32 v14, 0
	s_mov_b64 s[20:21], 0
	v_mov_b32_e32 v15, 0
	s_mov_b64 s[22:23], 0
.LBB4_1218:                             ;   Parent Loop BB4_1200 Depth=1
                                        ; =>  This Inner Loop Header: Depth=2
	s_add_u32 s26, s4, s22
	s_addc_u32 s27, s5, s23
	global_load_ubyte v4, v28, s[26:27]
	s_add_u32 s22, s22, 1
	s_addc_u32 s23, s23, 0
	s_waitcnt vmcnt(0)
	v_and_b32_e32 v27, 0xffff, v4
	v_lshlrev_b64 v[4:5], s20, v[27:28]
	s_add_u32 s20, s20, 8
	s_addc_u32 s21, s21, 0
	v_or_b32_e32 v14, v4, v14
	s_cmp_lg_u32 s24, s22
	v_or_b32_e32 v15, v5, v15
	s_cbranch_scc1 .LBB4_1218
	s_branch .LBB4_1221
.LBB4_1219:                             ;   in Loop: Header=BB4_1200 Depth=1
                                        ; implicit-def: $sgpr15
	s_branch .LBB4_1222
.LBB4_1220:                             ;   in Loop: Header=BB4_1200 Depth=1
	v_mov_b32_e32 v14, 0
	v_mov_b32_e32 v15, 0
.LBB4_1221:                             ;   in Loop: Header=BB4_1200 Depth=1
	s_mov_b32 s15, 0
	s_cbranch_execnz .LBB4_1223
.LBB4_1222:                             ;   in Loop: Header=BB4_1200 Depth=1
	global_load_dwordx2 v[14:15], v28, s[4:5]
	s_add_i32 s15, s24, -8
	s_add_u32 s4, s4, 8
	s_addc_u32 s5, s5, 0
.LBB4_1223:                             ;   in Loop: Header=BB4_1200 Depth=1
	s_cmp_gt_u32 s15, 7
	s_cbranch_scc1 .LBB4_1227
; %bb.1224:                             ;   in Loop: Header=BB4_1200 Depth=1
	s_cmp_eq_u32 s15, 0
	s_cbranch_scc1 .LBB4_1228
; %bb.1225:                             ;   in Loop: Header=BB4_1200 Depth=1
	v_mov_b32_e32 v16, 0
	s_mov_b64 s[20:21], 0
	v_mov_b32_e32 v17, 0
	s_mov_b64 s[22:23], 0
.LBB4_1226:                             ;   Parent Loop BB4_1200 Depth=1
                                        ; =>  This Inner Loop Header: Depth=2
	s_add_u32 s24, s4, s22
	s_addc_u32 s25, s5, s23
	global_load_ubyte v4, v28, s[24:25]
	s_add_u32 s22, s22, 1
	s_addc_u32 s23, s23, 0
	s_waitcnt vmcnt(0)
	v_and_b32_e32 v27, 0xffff, v4
	v_lshlrev_b64 v[4:5], s20, v[27:28]
	s_add_u32 s20, s20, 8
	s_addc_u32 s21, s21, 0
	v_or_b32_e32 v16, v4, v16
	s_cmp_lg_u32 s15, s22
	v_or_b32_e32 v17, v5, v17
	s_cbranch_scc1 .LBB4_1226
	s_branch .LBB4_1229
.LBB4_1227:                             ;   in Loop: Header=BB4_1200 Depth=1
                                        ; implicit-def: $vgpr16_vgpr17
                                        ; implicit-def: $sgpr24
	s_branch .LBB4_1230
.LBB4_1228:                             ;   in Loop: Header=BB4_1200 Depth=1
	v_mov_b32_e32 v16, 0
	v_mov_b32_e32 v17, 0
.LBB4_1229:                             ;   in Loop: Header=BB4_1200 Depth=1
	s_mov_b32 s24, 0
	s_cbranch_execnz .LBB4_1231
.LBB4_1230:                             ;   in Loop: Header=BB4_1200 Depth=1
	global_load_dwordx2 v[16:17], v28, s[4:5]
	s_add_i32 s24, s15, -8
	s_add_u32 s4, s4, 8
	s_addc_u32 s5, s5, 0
.LBB4_1231:                             ;   in Loop: Header=BB4_1200 Depth=1
	s_cmp_gt_u32 s24, 7
	s_cbranch_scc1 .LBB4_1235
; %bb.1232:                             ;   in Loop: Header=BB4_1200 Depth=1
	s_cmp_eq_u32 s24, 0
	s_cbranch_scc1 .LBB4_1236
; %bb.1233:                             ;   in Loop: Header=BB4_1200 Depth=1
	v_mov_b32_e32 v18, 0
	s_mov_b64 s[20:21], 0
	v_mov_b32_e32 v19, 0
	s_mov_b64 s[22:23], 0
.LBB4_1234:                             ;   Parent Loop BB4_1200 Depth=1
                                        ; =>  This Inner Loop Header: Depth=2
	s_add_u32 s26, s4, s22
	s_addc_u32 s27, s5, s23
	global_load_ubyte v4, v28, s[26:27]
	s_add_u32 s22, s22, 1
	s_addc_u32 s23, s23, 0
	s_waitcnt vmcnt(0)
	v_and_b32_e32 v27, 0xffff, v4
	v_lshlrev_b64 v[4:5], s20, v[27:28]
	s_add_u32 s20, s20, 8
	s_addc_u32 s21, s21, 0
	v_or_b32_e32 v18, v4, v18
	s_cmp_lg_u32 s24, s22
	v_or_b32_e32 v19, v5, v19
	s_cbranch_scc1 .LBB4_1234
	s_branch .LBB4_1237
.LBB4_1235:                             ;   in Loop: Header=BB4_1200 Depth=1
                                        ; implicit-def: $sgpr15
	s_branch .LBB4_1238
.LBB4_1236:                             ;   in Loop: Header=BB4_1200 Depth=1
	v_mov_b32_e32 v18, 0
	v_mov_b32_e32 v19, 0
.LBB4_1237:                             ;   in Loop: Header=BB4_1200 Depth=1
	s_mov_b32 s15, 0
	s_cbranch_execnz .LBB4_1239
.LBB4_1238:                             ;   in Loop: Header=BB4_1200 Depth=1
	global_load_dwordx2 v[18:19], v28, s[4:5]
	s_add_i32 s15, s24, -8
	s_add_u32 s4, s4, 8
	s_addc_u32 s5, s5, 0
.LBB4_1239:                             ;   in Loop: Header=BB4_1200 Depth=1
	s_cmp_gt_u32 s15, 7
	s_cbranch_scc1 .LBB4_1243
; %bb.1240:                             ;   in Loop: Header=BB4_1200 Depth=1
	s_cmp_eq_u32 s15, 0
	s_cbranch_scc1 .LBB4_1244
; %bb.1241:                             ;   in Loop: Header=BB4_1200 Depth=1
	v_mov_b32_e32 v20, 0
	s_mov_b64 s[20:21], 0
	v_mov_b32_e32 v21, 0
	s_mov_b64 s[22:23], 0
.LBB4_1242:                             ;   Parent Loop BB4_1200 Depth=1
                                        ; =>  This Inner Loop Header: Depth=2
	s_add_u32 s24, s4, s22
	s_addc_u32 s25, s5, s23
	global_load_ubyte v4, v28, s[24:25]
	s_add_u32 s22, s22, 1
	s_addc_u32 s23, s23, 0
	s_waitcnt vmcnt(0)
	v_and_b32_e32 v27, 0xffff, v4
	v_lshlrev_b64 v[4:5], s20, v[27:28]
	s_add_u32 s20, s20, 8
	s_addc_u32 s21, s21, 0
	v_or_b32_e32 v20, v4, v20
	s_cmp_lg_u32 s15, s22
	v_or_b32_e32 v21, v5, v21
	s_cbranch_scc1 .LBB4_1242
	s_branch .LBB4_1245
.LBB4_1243:                             ;   in Loop: Header=BB4_1200 Depth=1
                                        ; implicit-def: $vgpr20_vgpr21
                                        ; implicit-def: $sgpr24
	s_branch .LBB4_1246
.LBB4_1244:                             ;   in Loop: Header=BB4_1200 Depth=1
	v_mov_b32_e32 v20, 0
	v_mov_b32_e32 v21, 0
.LBB4_1245:                             ;   in Loop: Header=BB4_1200 Depth=1
	s_mov_b32 s24, 0
	s_cbranch_execnz .LBB4_1247
.LBB4_1246:                             ;   in Loop: Header=BB4_1200 Depth=1
	global_load_dwordx2 v[20:21], v28, s[4:5]
	s_add_i32 s24, s15, -8
	s_add_u32 s4, s4, 8
	s_addc_u32 s5, s5, 0
.LBB4_1247:                             ;   in Loop: Header=BB4_1200 Depth=1
	s_cmp_gt_u32 s24, 7
	s_cbranch_scc1 .LBB4_1251
; %bb.1248:                             ;   in Loop: Header=BB4_1200 Depth=1
	s_cmp_eq_u32 s24, 0
	s_cbranch_scc1 .LBB4_1252
; %bb.1249:                             ;   in Loop: Header=BB4_1200 Depth=1
	v_mov_b32_e32 v22, 0
	s_mov_b64 s[20:21], 0
	v_mov_b32_e32 v23, 0
	s_mov_b64 s[22:23], s[4:5]
.LBB4_1250:                             ;   Parent Loop BB4_1200 Depth=1
                                        ; =>  This Inner Loop Header: Depth=2
	global_load_ubyte v4, v28, s[22:23]
	s_add_i32 s24, s24, -1
	s_waitcnt vmcnt(0)
	v_and_b32_e32 v27, 0xffff, v4
	v_lshlrev_b64 v[4:5], s20, v[27:28]
	s_add_u32 s20, s20, 8
	s_addc_u32 s21, s21, 0
	s_add_u32 s22, s22, 1
	s_addc_u32 s23, s23, 0
	v_or_b32_e32 v22, v4, v22
	s_cmp_lg_u32 s24, 0
	v_or_b32_e32 v23, v5, v23
	s_cbranch_scc1 .LBB4_1250
	s_branch .LBB4_1253
.LBB4_1251:                             ;   in Loop: Header=BB4_1200 Depth=1
	s_branch .LBB4_1254
.LBB4_1252:                             ;   in Loop: Header=BB4_1200 Depth=1
	v_mov_b32_e32 v22, 0
	v_mov_b32_e32 v23, 0
.LBB4_1253:                             ;   in Loop: Header=BB4_1200 Depth=1
	s_cbranch_execnz .LBB4_1255
.LBB4_1254:                             ;   in Loop: Header=BB4_1200 Depth=1
	global_load_dwordx2 v[22:23], v28, s[4:5]
.LBB4_1255:                             ;   in Loop: Header=BB4_1200 Depth=1
	v_readfirstlane_b32 s4, v50
	s_waitcnt vmcnt(0)
	v_mov_b32_e32 v4, 0
	v_mov_b32_e32 v5, 0
	v_cmp_eq_u32_e64 s[4:5], s4, v50
	s_and_saveexec_b64 s[20:21], s[4:5]
	s_cbranch_execz .LBB4_1261
; %bb.1256:                             ;   in Loop: Header=BB4_1200 Depth=1
	global_load_dwordx2 v[26:27], v28, s[36:37] offset:24 glc
	s_waitcnt vmcnt(0)
	buffer_wbinvl1_vol
	global_load_dwordx2 v[4:5], v28, s[36:37] offset:40
	global_load_dwordx2 v[8:9], v28, s[36:37]
	s_waitcnt vmcnt(1)
	v_and_b32_e32 v4, v4, v26
	v_and_b32_e32 v5, v5, v27
	v_mul_lo_u32 v5, v5, 24
	v_mul_hi_u32 v24, v4, 24
	v_mul_lo_u32 v4, v4, 24
	v_add_u32_e32 v5, v24, v5
	s_waitcnt vmcnt(0)
	v_add_co_u32_e32 v4, vcc, v8, v4
	v_addc_co_u32_e32 v5, vcc, v9, v5, vcc
	global_load_dwordx2 v[24:25], v[4:5], off glc
	s_waitcnt vmcnt(0)
	global_atomic_cmpswap_x2 v[4:5], v28, v[24:27], s[36:37] offset:24 glc
	s_waitcnt vmcnt(0)
	buffer_wbinvl1_vol
	v_cmp_ne_u64_e32 vcc, v[4:5], v[26:27]
	s_and_saveexec_b64 s[22:23], vcc
	s_cbranch_execz .LBB4_1260
; %bb.1257:                             ;   in Loop: Header=BB4_1200 Depth=1
	s_mov_b64 s[24:25], 0
.LBB4_1258:                             ;   Parent Loop BB4_1200 Depth=1
                                        ; =>  This Inner Loop Header: Depth=2
	s_sleep 1
	global_load_dwordx2 v[8:9], v28, s[36:37] offset:40
	global_load_dwordx2 v[24:25], v28, s[36:37]
	v_mov_b32_e32 v27, v5
	v_mov_b32_e32 v26, v4
	s_waitcnt vmcnt(1)
	v_and_b32_e32 v4, v8, v26
	s_waitcnt vmcnt(0)
	v_mad_u64_u32 v[4:5], s[26:27], v4, 24, v[24:25]
	v_and_b32_e32 v8, v9, v27
	v_mad_u64_u32 v[8:9], s[26:27], v8, 24, v[5:6]
	v_mov_b32_e32 v5, v8
	global_load_dwordx2 v[24:25], v[4:5], off glc
	s_waitcnt vmcnt(0)
	global_atomic_cmpswap_x2 v[4:5], v28, v[24:27], s[36:37] offset:24 glc
	s_waitcnt vmcnt(0)
	buffer_wbinvl1_vol
	v_cmp_eq_u64_e32 vcc, v[4:5], v[26:27]
	s_or_b64 s[24:25], vcc, s[24:25]
	s_andn2_b64 exec, exec, s[24:25]
	s_cbranch_execnz .LBB4_1258
; %bb.1259:                             ;   in Loop: Header=BB4_1200 Depth=1
	s_or_b64 exec, exec, s[24:25]
.LBB4_1260:                             ;   in Loop: Header=BB4_1200 Depth=1
	s_or_b64 exec, exec, s[22:23]
.LBB4_1261:                             ;   in Loop: Header=BB4_1200 Depth=1
	s_or_b64 exec, exec, s[20:21]
	global_load_dwordx2 v[8:9], v28, s[36:37] offset:40
	global_load_dwordx4 v[24:27], v28, s[36:37]
	v_readfirstlane_b32 s20, v4
	v_readfirstlane_b32 s21, v5
	s_mov_b64 s[22:23], exec
	s_waitcnt vmcnt(1)
	v_readfirstlane_b32 s24, v8
	v_readfirstlane_b32 s25, v9
	s_and_b64 s[24:25], s[20:21], s[24:25]
	s_mul_i32 s15, s25, 24
	s_mul_hi_u32 s26, s24, 24
	s_mul_i32 s27, s24, 24
	s_add_i32 s15, s26, s15
	v_mov_b32_e32 v4, s15
	s_waitcnt vmcnt(0)
	v_add_co_u32_e32 v29, vcc, s27, v24
	v_addc_co_u32_e32 v30, vcc, v25, v4, vcc
	s_and_saveexec_b64 s[26:27], s[4:5]
	s_cbranch_execz .LBB4_1263
; %bb.1262:                             ;   in Loop: Header=BB4_1200 Depth=1
	v_mov_b32_e32 v4, s22
	v_mov_b32_e32 v5, s23
	global_store_dwordx4 v[29:30], v[4:7], off offset:8
.LBB4_1263:                             ;   in Loop: Header=BB4_1200 Depth=1
	s_or_b64 exec, exec, s[26:27]
	s_lshl_b64 s[22:23], s[24:25], 12
	v_mov_b32_e32 v4, s23
	v_add_co_u32_e32 v26, vcc, s22, v26
	v_addc_co_u32_e32 v32, vcc, v27, v4, vcc
	v_cmp_gt_u64_e64 vcc, s[16:17], 56
	v_or_b32_e32 v5, v2, v31
	s_lshl_b32 s15, s18, 2
	v_cndmask_b32_e32 v2, v5, v2, vcc
	s_add_i32 s15, s15, 28
	v_or_b32_e32 v4, 0, v3
	s_and_b32 s15, s15, 0x1e0
	v_and_b32_e32 v2, 0xffffff1f, v2
	v_cndmask_b32_e32 v9, v4, v3, vcc
	v_or_b32_e32 v8, s15, v2
	v_readfirstlane_b32 s22, v26
	v_readfirstlane_b32 s23, v32
	s_nop 4
	global_store_dwordx4 v39, v[8:11], s[22:23]
	global_store_dwordx4 v39, v[12:15], s[22:23] offset:16
	global_store_dwordx4 v39, v[16:19], s[22:23] offset:32
	;; [unrolled: 1-line block ×3, first 2 shown]
	s_and_saveexec_b64 s[22:23], s[4:5]
	s_cbranch_execz .LBB4_1271
; %bb.1264:                             ;   in Loop: Header=BB4_1200 Depth=1
	global_load_dwordx2 v[12:13], v28, s[36:37] offset:32 glc
	global_load_dwordx2 v[2:3], v28, s[36:37] offset:40
	v_mov_b32_e32 v10, s20
	v_mov_b32_e32 v11, s21
	s_waitcnt vmcnt(0)
	v_readfirstlane_b32 s24, v2
	v_readfirstlane_b32 s25, v3
	s_and_b64 s[24:25], s[24:25], s[20:21]
	s_mul_i32 s15, s25, 24
	s_mul_hi_u32 s25, s24, 24
	s_mul_i32 s24, s24, 24
	s_add_i32 s15, s25, s15
	v_mov_b32_e32 v2, s15
	v_add_co_u32_e32 v8, vcc, s24, v24
	v_addc_co_u32_e32 v9, vcc, v25, v2, vcc
	global_store_dwordx2 v[8:9], v[12:13], off
	s_waitcnt vmcnt(0)
	global_atomic_cmpswap_x2 v[4:5], v28, v[10:13], s[36:37] offset:32 glc
	s_waitcnt vmcnt(0)
	v_cmp_ne_u64_e32 vcc, v[4:5], v[12:13]
	s_and_saveexec_b64 s[24:25], vcc
	s_cbranch_execz .LBB4_1267
; %bb.1265:                             ;   in Loop: Header=BB4_1200 Depth=1
	s_mov_b64 s[26:27], 0
.LBB4_1266:                             ;   Parent Loop BB4_1200 Depth=1
                                        ; =>  This Inner Loop Header: Depth=2
	s_sleep 1
	global_store_dwordx2 v[8:9], v[4:5], off
	v_mov_b32_e32 v2, s20
	v_mov_b32_e32 v3, s21
	s_waitcnt vmcnt(0)
	global_atomic_cmpswap_x2 v[2:3], v28, v[2:5], s[36:37] offset:32 glc
	s_waitcnt vmcnt(0)
	v_cmp_eq_u64_e32 vcc, v[2:3], v[4:5]
	v_mov_b32_e32 v5, v3
	s_or_b64 s[26:27], vcc, s[26:27]
	v_mov_b32_e32 v4, v2
	s_andn2_b64 exec, exec, s[26:27]
	s_cbranch_execnz .LBB4_1266
.LBB4_1267:                             ;   in Loop: Header=BB4_1200 Depth=1
	s_or_b64 exec, exec, s[24:25]
	global_load_dwordx2 v[2:3], v28, s[36:37] offset:16
	s_mov_b64 s[26:27], exec
	v_mbcnt_lo_u32_b32 v4, s26, 0
	v_mbcnt_hi_u32_b32 v4, s27, v4
	v_cmp_eq_u32_e32 vcc, 0, v4
	s_and_saveexec_b64 s[24:25], vcc
	s_cbranch_execz .LBB4_1269
; %bb.1268:                             ;   in Loop: Header=BB4_1200 Depth=1
	s_bcnt1_i32_b64 s15, s[26:27]
	v_mov_b32_e32 v27, s15
	s_waitcnt vmcnt(0)
	global_atomic_add_x2 v[2:3], v[27:28], off offset:8
.LBB4_1269:                             ;   in Loop: Header=BB4_1200 Depth=1
	s_or_b64 exec, exec, s[24:25]
	s_waitcnt vmcnt(0)
	global_load_dwordx2 v[4:5], v[2:3], off offset:16
	s_waitcnt vmcnt(0)
	v_cmp_eq_u64_e32 vcc, 0, v[4:5]
	s_cbranch_vccnz .LBB4_1271
; %bb.1270:                             ;   in Loop: Header=BB4_1200 Depth=1
	global_load_dword v27, v[2:3], off offset:24
	s_waitcnt vmcnt(0)
	v_and_b32_e32 v2, 0xffffff, v27
	v_readfirstlane_b32 m0, v2
	global_store_dwordx2 v[4:5], v[27:28], off
	s_sendmsg sendmsg(MSG_INTERRUPT)
.LBB4_1271:                             ;   in Loop: Header=BB4_1200 Depth=1
	s_or_b64 exec, exec, s[22:23]
	v_add_co_u32_e32 v2, vcc, v26, v39
	v_addc_co_u32_e32 v3, vcc, 0, v32, vcc
	s_branch .LBB4_1275
.LBB4_1272:                             ;   in Loop: Header=BB4_1275 Depth=2
	s_or_b64 exec, exec, s[22:23]
	v_readfirstlane_b32 s15, v4
	s_cmp_eq_u32 s15, 0
	s_cbranch_scc1 .LBB4_1274
; %bb.1273:                             ;   in Loop: Header=BB4_1275 Depth=2
	s_sleep 1
	s_cbranch_execnz .LBB4_1275
	s_branch .LBB4_1277
.LBB4_1274:                             ;   in Loop: Header=BB4_1200 Depth=1
	s_branch .LBB4_1277
.LBB4_1275:                             ;   Parent Loop BB4_1200 Depth=1
                                        ; =>  This Inner Loop Header: Depth=2
	v_mov_b32_e32 v4, 1
	s_and_saveexec_b64 s[22:23], s[4:5]
	s_cbranch_execz .LBB4_1272
; %bb.1276:                             ;   in Loop: Header=BB4_1275 Depth=2
	global_load_dword v4, v[29:30], off offset:20 glc
	s_waitcnt vmcnt(0)
	buffer_wbinvl1_vol
	v_and_b32_e32 v4, 1, v4
	s_branch .LBB4_1272
.LBB4_1277:                             ;   in Loop: Header=BB4_1200 Depth=1
	global_load_dwordx4 v[2:5], v[2:3], off
	s_and_saveexec_b64 s[22:23], s[4:5]
	s_cbranch_execz .LBB4_1199
; %bb.1278:                             ;   in Loop: Header=BB4_1200 Depth=1
	global_load_dwordx2 v[4:5], v28, s[36:37] offset:40
	global_load_dwordx2 v[12:13], v28, s[36:37] offset:24 glc
	global_load_dwordx2 v[14:15], v28, s[36:37]
	v_mov_b32_e32 v9, s21
	s_waitcnt vmcnt(2)
	v_add_co_u32_e32 v10, vcc, 1, v4
	v_addc_co_u32_e32 v11, vcc, 0, v5, vcc
	v_add_co_u32_e32 v8, vcc, s20, v10
	v_addc_co_u32_e32 v9, vcc, v11, v9, vcc
	v_cmp_eq_u64_e32 vcc, 0, v[8:9]
	v_cndmask_b32_e32 v9, v9, v11, vcc
	v_cndmask_b32_e32 v8, v8, v10, vcc
	v_and_b32_e32 v5, v9, v5
	v_and_b32_e32 v4, v8, v4
	v_mul_lo_u32 v5, v5, 24
	v_mul_hi_u32 v11, v4, 24
	v_mul_lo_u32 v4, v4, 24
	s_waitcnt vmcnt(1)
	v_mov_b32_e32 v10, v12
	v_add_u32_e32 v5, v11, v5
	s_waitcnt vmcnt(0)
	v_add_co_u32_e32 v4, vcc, v14, v4
	v_addc_co_u32_e32 v5, vcc, v15, v5, vcc
	global_store_dwordx2 v[4:5], v[12:13], off
	v_mov_b32_e32 v11, v13
	s_waitcnt vmcnt(0)
	global_atomic_cmpswap_x2 v[10:11], v28, v[8:11], s[36:37] offset:24 glc
	s_waitcnt vmcnt(0)
	v_cmp_ne_u64_e32 vcc, v[10:11], v[12:13]
	s_and_b64 exec, exec, vcc
	s_cbranch_execz .LBB4_1199
; %bb.1279:                             ;   in Loop: Header=BB4_1200 Depth=1
	s_mov_b64 s[4:5], 0
.LBB4_1280:                             ;   Parent Loop BB4_1200 Depth=1
                                        ; =>  This Inner Loop Header: Depth=2
	s_sleep 1
	global_store_dwordx2 v[4:5], v[10:11], off
	s_waitcnt vmcnt(0)
	global_atomic_cmpswap_x2 v[12:13], v28, v[8:11], s[36:37] offset:24 glc
	s_waitcnt vmcnt(0)
	v_cmp_eq_u64_e32 vcc, v[12:13], v[10:11]
	v_mov_b32_e32 v10, v12
	s_or_b64 s[4:5], vcc, s[4:5]
	v_mov_b32_e32 v11, v13
	s_andn2_b64 exec, exec, s[4:5]
	s_cbranch_execnz .LBB4_1280
	s_branch .LBB4_1199
.LBB4_1281:
	s_branch .LBB4_1309
.LBB4_1282:
                                        ; implicit-def: $vgpr2_vgpr3
	s_cbranch_execz .LBB4_1309
; %bb.1283:
	v_readfirstlane_b32 s4, v50
	v_mov_b32_e32 v8, 0
	v_mov_b32_e32 v9, 0
	v_cmp_eq_u32_e64 s[4:5], s4, v50
	s_and_saveexec_b64 s[10:11], s[4:5]
	s_cbranch_execz .LBB4_1289
; %bb.1284:
	s_waitcnt vmcnt(0)
	v_mov_b32_e32 v2, 0
	global_load_dwordx2 v[5:6], v2, s[36:37] offset:24 glc
	s_waitcnt vmcnt(0)
	buffer_wbinvl1_vol
	global_load_dwordx2 v[3:4], v2, s[36:37] offset:40
	global_load_dwordx2 v[7:8], v2, s[36:37]
	s_waitcnt vmcnt(1)
	v_and_b32_e32 v3, v3, v5
	v_and_b32_e32 v4, v4, v6
	v_mul_lo_u32 v4, v4, 24
	v_mul_hi_u32 v9, v3, 24
	v_mul_lo_u32 v3, v3, 24
	v_add_u32_e32 v4, v9, v4
	s_waitcnt vmcnt(0)
	v_add_co_u32_e32 v3, vcc, v7, v3
	v_addc_co_u32_e32 v4, vcc, v8, v4, vcc
	global_load_dwordx2 v[3:4], v[3:4], off glc
	s_waitcnt vmcnt(0)
	global_atomic_cmpswap_x2 v[8:9], v2, v[3:6], s[36:37] offset:24 glc
	s_waitcnt vmcnt(0)
	buffer_wbinvl1_vol
	v_cmp_ne_u64_e32 vcc, v[8:9], v[5:6]
	s_and_saveexec_b64 s[16:17], vcc
	s_cbranch_execz .LBB4_1288
; %bb.1285:
	s_mov_b64 s[18:19], 0
.LBB4_1286:                             ; =>This Inner Loop Header: Depth=1
	s_sleep 1
	global_load_dwordx2 v[3:4], v2, s[36:37] offset:40
	global_load_dwordx2 v[10:11], v2, s[36:37]
	v_mov_b32_e32 v5, v8
	v_mov_b32_e32 v6, v9
	s_waitcnt vmcnt(1)
	v_and_b32_e32 v3, v3, v5
	s_waitcnt vmcnt(0)
	v_mad_u64_u32 v[7:8], s[20:21], v3, 24, v[10:11]
	v_and_b32_e32 v4, v4, v6
	v_mov_b32_e32 v3, v8
	v_mad_u64_u32 v[3:4], s[20:21], v4, 24, v[3:4]
	v_mov_b32_e32 v8, v3
	global_load_dwordx2 v[3:4], v[7:8], off glc
	s_waitcnt vmcnt(0)
	global_atomic_cmpswap_x2 v[8:9], v2, v[3:6], s[36:37] offset:24 glc
	s_waitcnt vmcnt(0)
	buffer_wbinvl1_vol
	v_cmp_eq_u64_e32 vcc, v[8:9], v[5:6]
	s_or_b64 s[18:19], vcc, s[18:19]
	s_andn2_b64 exec, exec, s[18:19]
	s_cbranch_execnz .LBB4_1286
; %bb.1287:
	s_or_b64 exec, exec, s[18:19]
.LBB4_1288:
	s_or_b64 exec, exec, s[16:17]
.LBB4_1289:
	s_or_b64 exec, exec, s[10:11]
	s_waitcnt vmcnt(0)
	v_mov_b32_e32 v2, 0
	global_load_dwordx2 v[10:11], v2, s[36:37] offset:40
	global_load_dwordx4 v[4:7], v2, s[36:37]
	v_readfirstlane_b32 s10, v8
	v_readfirstlane_b32 s11, v9
	s_mov_b64 s[16:17], exec
	s_waitcnt vmcnt(1)
	v_readfirstlane_b32 s18, v10
	v_readfirstlane_b32 s19, v11
	s_and_b64 s[18:19], s[10:11], s[18:19]
	s_mul_i32 s15, s19, 24
	s_mul_hi_u32 s20, s18, 24
	s_mul_i32 s21, s18, 24
	s_add_i32 s15, s20, s15
	v_mov_b32_e32 v3, s15
	s_waitcnt vmcnt(0)
	v_add_co_u32_e32 v8, vcc, s21, v4
	v_addc_co_u32_e32 v9, vcc, v5, v3, vcc
	s_and_saveexec_b64 s[20:21], s[4:5]
	s_cbranch_execz .LBB4_1291
; %bb.1290:
	v_mov_b32_e32 v10, s16
	v_mov_b32_e32 v11, s17
	;; [unrolled: 1-line block ×4, first 2 shown]
	global_store_dwordx4 v[8:9], v[10:13], off offset:8
.LBB4_1291:
	s_or_b64 exec, exec, s[20:21]
	s_lshl_b64 s[16:17], s[18:19], 12
	v_mov_b32_e32 v3, s17
	v_add_co_u32_e32 v10, vcc, s16, v6
	v_addc_co_u32_e32 v11, vcc, v7, v3, vcc
	s_movk_i32 s15, 0xff1f
	v_and_or_b32 v0, v0, s15, 32
	s_mov_b32 s16, 0
	v_mov_b32_e32 v3, v2
	v_readfirstlane_b32 s20, v10
	v_readfirstlane_b32 s21, v11
	v_add_co_u32_e32 v6, vcc, v10, v39
	s_mov_b32 s17, s16
	s_mov_b32 s18, s16
	;; [unrolled: 1-line block ×3, first 2 shown]
	s_nop 0
	global_store_dwordx4 v39, v[0:3], s[20:21]
	v_addc_co_u32_e32 v7, vcc, 0, v11, vcc
	v_mov_b32_e32 v0, s16
	v_mov_b32_e32 v1, s17
	;; [unrolled: 1-line block ×4, first 2 shown]
	global_store_dwordx4 v39, v[0:3], s[20:21] offset:16
	global_store_dwordx4 v39, v[0:3], s[20:21] offset:32
	;; [unrolled: 1-line block ×3, first 2 shown]
	s_and_saveexec_b64 s[16:17], s[4:5]
	s_cbranch_execz .LBB4_1299
; %bb.1292:
	v_mov_b32_e32 v10, 0
	global_load_dwordx2 v[13:14], v10, s[36:37] offset:32 glc
	global_load_dwordx2 v[0:1], v10, s[36:37] offset:40
	v_mov_b32_e32 v11, s10
	v_mov_b32_e32 v12, s11
	s_waitcnt vmcnt(0)
	v_readfirstlane_b32 s18, v0
	v_readfirstlane_b32 s19, v1
	s_and_b64 s[18:19], s[18:19], s[10:11]
	s_mul_i32 s15, s19, 24
	s_mul_hi_u32 s19, s18, 24
	s_mul_i32 s18, s18, 24
	s_add_i32 s15, s19, s15
	v_mov_b32_e32 v0, s15
	v_add_co_u32_e32 v4, vcc, s18, v4
	v_addc_co_u32_e32 v5, vcc, v5, v0, vcc
	global_store_dwordx2 v[4:5], v[13:14], off
	s_waitcnt vmcnt(0)
	global_atomic_cmpswap_x2 v[2:3], v10, v[11:14], s[36:37] offset:32 glc
	s_waitcnt vmcnt(0)
	v_cmp_ne_u64_e32 vcc, v[2:3], v[13:14]
	s_and_saveexec_b64 s[18:19], vcc
	s_cbranch_execz .LBB4_1295
; %bb.1293:
	s_mov_b64 s[20:21], 0
.LBB4_1294:                             ; =>This Inner Loop Header: Depth=1
	s_sleep 1
	global_store_dwordx2 v[4:5], v[2:3], off
	v_mov_b32_e32 v0, s10
	v_mov_b32_e32 v1, s11
	s_waitcnt vmcnt(0)
	global_atomic_cmpswap_x2 v[0:1], v10, v[0:3], s[36:37] offset:32 glc
	s_waitcnt vmcnt(0)
	v_cmp_eq_u64_e32 vcc, v[0:1], v[2:3]
	v_mov_b32_e32 v3, v1
	s_or_b64 s[20:21], vcc, s[20:21]
	v_mov_b32_e32 v2, v0
	s_andn2_b64 exec, exec, s[20:21]
	s_cbranch_execnz .LBB4_1294
.LBB4_1295:
	s_or_b64 exec, exec, s[18:19]
	v_mov_b32_e32 v3, 0
	global_load_dwordx2 v[0:1], v3, s[36:37] offset:16
	s_mov_b64 s[18:19], exec
	v_mbcnt_lo_u32_b32 v2, s18, 0
	v_mbcnt_hi_u32_b32 v2, s19, v2
	v_cmp_eq_u32_e32 vcc, 0, v2
	s_and_saveexec_b64 s[20:21], vcc
	s_cbranch_execz .LBB4_1297
; %bb.1296:
	s_bcnt1_i32_b64 s15, s[18:19]
	v_mov_b32_e32 v2, s15
	s_waitcnt vmcnt(0)
	global_atomic_add_x2 v[0:1], v[2:3], off offset:8
.LBB4_1297:
	s_or_b64 exec, exec, s[20:21]
	s_waitcnt vmcnt(0)
	global_load_dwordx2 v[2:3], v[0:1], off offset:16
	s_waitcnt vmcnt(0)
	v_cmp_eq_u64_e32 vcc, 0, v[2:3]
	s_cbranch_vccnz .LBB4_1299
; %bb.1298:
	global_load_dword v0, v[0:1], off offset:24
	v_mov_b32_e32 v1, 0
	s_waitcnt vmcnt(0)
	global_store_dwordx2 v[2:3], v[0:1], off
	v_and_b32_e32 v0, 0xffffff, v0
	v_readfirstlane_b32 m0, v0
	s_sendmsg sendmsg(MSG_INTERRUPT)
.LBB4_1299:
	s_or_b64 exec, exec, s[16:17]
	s_branch .LBB4_1303
.LBB4_1300:                             ;   in Loop: Header=BB4_1303 Depth=1
	s_or_b64 exec, exec, s[16:17]
	v_readfirstlane_b32 s15, v0
	s_cmp_eq_u32 s15, 0
	s_cbranch_scc1 .LBB4_1302
; %bb.1301:                             ;   in Loop: Header=BB4_1303 Depth=1
	s_sleep 1
	s_cbranch_execnz .LBB4_1303
	s_branch .LBB4_1305
.LBB4_1302:
	s_branch .LBB4_1305
.LBB4_1303:                             ; =>This Inner Loop Header: Depth=1
	v_mov_b32_e32 v0, 1
	s_and_saveexec_b64 s[16:17], s[4:5]
	s_cbranch_execz .LBB4_1300
; %bb.1304:                             ;   in Loop: Header=BB4_1303 Depth=1
	global_load_dword v0, v[8:9], off offset:20 glc
	s_waitcnt vmcnt(0)
	buffer_wbinvl1_vol
	v_and_b32_e32 v0, 1, v0
	s_branch .LBB4_1300
.LBB4_1305:
	global_load_dwordx2 v[2:3], v[6:7], off
	s_and_saveexec_b64 s[16:17], s[4:5]
	s_cbranch_execz .LBB4_1308
; %bb.1306:
	v_mov_b32_e32 v8, 0
	global_load_dwordx2 v[0:1], v8, s[36:37] offset:40
	global_load_dwordx2 v[9:10], v8, s[36:37] offset:24 glc
	global_load_dwordx2 v[11:12], v8, s[36:37]
	v_mov_b32_e32 v5, s11
	s_mov_b64 s[4:5], 0
	s_waitcnt vmcnt(2)
	v_add_co_u32_e32 v6, vcc, 1, v0
	v_addc_co_u32_e32 v7, vcc, 0, v1, vcc
	v_add_co_u32_e32 v4, vcc, s10, v6
	v_addc_co_u32_e32 v5, vcc, v7, v5, vcc
	v_cmp_eq_u64_e32 vcc, 0, v[4:5]
	v_cndmask_b32_e32 v5, v5, v7, vcc
	v_cndmask_b32_e32 v4, v4, v6, vcc
	v_and_b32_e32 v1, v5, v1
	v_and_b32_e32 v0, v4, v0
	v_mul_lo_u32 v1, v1, 24
	v_mul_hi_u32 v7, v0, 24
	v_mul_lo_u32 v0, v0, 24
	s_waitcnt vmcnt(1)
	v_mov_b32_e32 v6, v9
	v_add_u32_e32 v1, v7, v1
	s_waitcnt vmcnt(0)
	v_add_co_u32_e32 v0, vcc, v11, v0
	v_addc_co_u32_e32 v1, vcc, v12, v1, vcc
	global_store_dwordx2 v[0:1], v[9:10], off
	v_mov_b32_e32 v7, v10
	s_waitcnt vmcnt(0)
	global_atomic_cmpswap_x2 v[6:7], v8, v[4:7], s[36:37] offset:24 glc
	s_waitcnt vmcnt(0)
	v_cmp_ne_u64_e32 vcc, v[6:7], v[9:10]
	s_and_b64 exec, exec, vcc
	s_cbranch_execz .LBB4_1308
.LBB4_1307:                             ; =>This Inner Loop Header: Depth=1
	s_sleep 1
	global_store_dwordx2 v[0:1], v[6:7], off
	s_waitcnt vmcnt(0)
	global_atomic_cmpswap_x2 v[9:10], v8, v[4:7], s[36:37] offset:24 glc
	s_waitcnt vmcnt(0)
	v_cmp_eq_u64_e32 vcc, v[9:10], v[6:7]
	v_mov_b32_e32 v6, v9
	s_or_b64 s[4:5], vcc, s[4:5]
	v_mov_b32_e32 v7, v10
	s_andn2_b64 exec, exec, s[4:5]
	s_cbranch_execnz .LBB4_1307
.LBB4_1308:
	s_or_b64 exec, exec, s[16:17]
.LBB4_1309:
	v_readfirstlane_b32 s4, v50
	s_waitcnt vmcnt(0)
	v_mov_b32_e32 v0, 0
	v_mov_b32_e32 v1, 0
	v_cmp_eq_u32_e64 s[4:5], s4, v50
	s_and_saveexec_b64 s[10:11], s[4:5]
	s_cbranch_execz .LBB4_1315
; %bb.1310:
	v_mov_b32_e32 v4, 0
	global_load_dwordx2 v[7:8], v4, s[36:37] offset:24 glc
	s_waitcnt vmcnt(0)
	buffer_wbinvl1_vol
	global_load_dwordx2 v[0:1], v4, s[36:37] offset:40
	global_load_dwordx2 v[5:6], v4, s[36:37]
	s_waitcnt vmcnt(1)
	v_and_b32_e32 v0, v0, v7
	v_and_b32_e32 v1, v1, v8
	v_mul_lo_u32 v1, v1, 24
	v_mul_hi_u32 v9, v0, 24
	v_mul_lo_u32 v0, v0, 24
	v_add_u32_e32 v1, v9, v1
	s_waitcnt vmcnt(0)
	v_add_co_u32_e32 v0, vcc, v5, v0
	v_addc_co_u32_e32 v1, vcc, v6, v1, vcc
	global_load_dwordx2 v[5:6], v[0:1], off glc
	s_waitcnt vmcnt(0)
	global_atomic_cmpswap_x2 v[0:1], v4, v[5:8], s[36:37] offset:24 glc
	s_waitcnt vmcnt(0)
	buffer_wbinvl1_vol
	v_cmp_ne_u64_e32 vcc, v[0:1], v[7:8]
	s_and_saveexec_b64 s[16:17], vcc
	s_cbranch_execz .LBB4_1314
; %bb.1311:
	s_mov_b64 s[18:19], 0
.LBB4_1312:                             ; =>This Inner Loop Header: Depth=1
	s_sleep 1
	global_load_dwordx2 v[5:6], v4, s[36:37] offset:40
	global_load_dwordx2 v[9:10], v4, s[36:37]
	v_mov_b32_e32 v8, v1
	v_mov_b32_e32 v7, v0
	s_waitcnt vmcnt(1)
	v_and_b32_e32 v0, v5, v7
	s_waitcnt vmcnt(0)
	v_mad_u64_u32 v[0:1], s[20:21], v0, 24, v[9:10]
	v_and_b32_e32 v5, v6, v8
	v_mad_u64_u32 v[5:6], s[20:21], v5, 24, v[1:2]
	v_mov_b32_e32 v1, v5
	global_load_dwordx2 v[5:6], v[0:1], off glc
	s_waitcnt vmcnt(0)
	global_atomic_cmpswap_x2 v[0:1], v4, v[5:8], s[36:37] offset:24 glc
	s_waitcnt vmcnt(0)
	buffer_wbinvl1_vol
	v_cmp_eq_u64_e32 vcc, v[0:1], v[7:8]
	s_or_b64 s[18:19], vcc, s[18:19]
	s_andn2_b64 exec, exec, s[18:19]
	s_cbranch_execnz .LBB4_1312
; %bb.1313:
	s_or_b64 exec, exec, s[18:19]
.LBB4_1314:
	s_or_b64 exec, exec, s[16:17]
.LBB4_1315:
	s_or_b64 exec, exec, s[10:11]
	v_mov_b32_e32 v5, 0
	global_load_dwordx2 v[10:11], v5, s[36:37] offset:40
	global_load_dwordx4 v[6:9], v5, s[36:37]
	v_readfirstlane_b32 s10, v0
	v_readfirstlane_b32 s11, v1
	s_mov_b64 s[16:17], exec
	s_waitcnt vmcnt(1)
	v_readfirstlane_b32 s18, v10
	v_readfirstlane_b32 s19, v11
	s_and_b64 s[18:19], s[10:11], s[18:19]
	s_mul_i32 s15, s19, 24
	s_mul_hi_u32 s20, s18, 24
	s_mul_i32 s21, s18, 24
	s_add_i32 s15, s20, s15
	v_mov_b32_e32 v0, s15
	s_waitcnt vmcnt(0)
	v_add_co_u32_e32 v10, vcc, s21, v6
	v_addc_co_u32_e32 v11, vcc, v7, v0, vcc
	s_and_saveexec_b64 s[20:21], s[4:5]
	s_cbranch_execz .LBB4_1317
; %bb.1316:
	v_mov_b32_e32 v12, s16
	v_mov_b32_e32 v13, s17
	v_mov_b32_e32 v14, 2
	v_mov_b32_e32 v15, 1
	global_store_dwordx4 v[10:11], v[12:15], off offset:8
.LBB4_1317:
	s_or_b64 exec, exec, s[20:21]
	s_lshl_b64 s[16:17], s[18:19], 12
	v_mov_b32_e32 v0, s17
	v_add_co_u32_e32 v1, vcc, s16, v8
	v_addc_co_u32_e32 v0, vcc, v9, v0, vcc
	s_movk_i32 s15, 0xff1d
	v_and_or_b32 v2, v2, s15, 34
	s_mov_b32 s16, 0
	v_mov_b32_e32 v4, 10
	v_readfirstlane_b32 s20, v1
	v_readfirstlane_b32 s21, v0
	s_mov_b32 s17, s16
	s_mov_b32 s18, s16
	;; [unrolled: 1-line block ×3, first 2 shown]
	s_nop 1
	global_store_dwordx4 v39, v[2:5], s[20:21]
	v_mov_b32_e32 v0, s16
	v_mov_b32_e32 v1, s17
	;; [unrolled: 1-line block ×4, first 2 shown]
	global_store_dwordx4 v39, v[0:3], s[20:21] offset:16
	global_store_dwordx4 v39, v[0:3], s[20:21] offset:32
	;; [unrolled: 1-line block ×3, first 2 shown]
	s_and_saveexec_b64 s[16:17], s[4:5]
	s_cbranch_execz .LBB4_1325
; %bb.1318:
	v_mov_b32_e32 v8, 0
	global_load_dwordx2 v[14:15], v8, s[36:37] offset:32 glc
	global_load_dwordx2 v[0:1], v8, s[36:37] offset:40
	v_mov_b32_e32 v12, s10
	v_mov_b32_e32 v13, s11
	s_waitcnt vmcnt(0)
	v_readfirstlane_b32 s18, v0
	v_readfirstlane_b32 s19, v1
	s_and_b64 s[18:19], s[18:19], s[10:11]
	s_mul_i32 s15, s19, 24
	s_mul_hi_u32 s19, s18, 24
	s_mul_i32 s18, s18, 24
	s_add_i32 s15, s19, s15
	v_mov_b32_e32 v0, s15
	v_add_co_u32_e32 v4, vcc, s18, v6
	v_addc_co_u32_e32 v5, vcc, v7, v0, vcc
	global_store_dwordx2 v[4:5], v[14:15], off
	s_waitcnt vmcnt(0)
	global_atomic_cmpswap_x2 v[2:3], v8, v[12:15], s[36:37] offset:32 glc
	s_waitcnt vmcnt(0)
	v_cmp_ne_u64_e32 vcc, v[2:3], v[14:15]
	s_and_saveexec_b64 s[18:19], vcc
	s_cbranch_execz .LBB4_1321
; %bb.1319:
	s_mov_b64 s[20:21], 0
.LBB4_1320:                             ; =>This Inner Loop Header: Depth=1
	s_sleep 1
	global_store_dwordx2 v[4:5], v[2:3], off
	v_mov_b32_e32 v0, s10
	v_mov_b32_e32 v1, s11
	s_waitcnt vmcnt(0)
	global_atomic_cmpswap_x2 v[0:1], v8, v[0:3], s[36:37] offset:32 glc
	s_waitcnt vmcnt(0)
	v_cmp_eq_u64_e32 vcc, v[0:1], v[2:3]
	v_mov_b32_e32 v3, v1
	s_or_b64 s[20:21], vcc, s[20:21]
	v_mov_b32_e32 v2, v0
	s_andn2_b64 exec, exec, s[20:21]
	s_cbranch_execnz .LBB4_1320
.LBB4_1321:
	s_or_b64 exec, exec, s[18:19]
	v_mov_b32_e32 v3, 0
	global_load_dwordx2 v[0:1], v3, s[36:37] offset:16
	s_mov_b64 s[18:19], exec
	v_mbcnt_lo_u32_b32 v2, s18, 0
	v_mbcnt_hi_u32_b32 v2, s19, v2
	v_cmp_eq_u32_e32 vcc, 0, v2
	s_and_saveexec_b64 s[20:21], vcc
	s_cbranch_execz .LBB4_1323
; %bb.1322:
	s_bcnt1_i32_b64 s15, s[18:19]
	v_mov_b32_e32 v2, s15
	s_waitcnt vmcnt(0)
	global_atomic_add_x2 v[0:1], v[2:3], off offset:8
.LBB4_1323:
	s_or_b64 exec, exec, s[20:21]
	s_waitcnt vmcnt(0)
	global_load_dwordx2 v[2:3], v[0:1], off offset:16
	s_waitcnt vmcnt(0)
	v_cmp_eq_u64_e32 vcc, 0, v[2:3]
	s_cbranch_vccnz .LBB4_1325
; %bb.1324:
	global_load_dword v0, v[0:1], off offset:24
	v_mov_b32_e32 v1, 0
	s_waitcnt vmcnt(0)
	global_store_dwordx2 v[2:3], v[0:1], off
	v_and_b32_e32 v0, 0xffffff, v0
	v_readfirstlane_b32 m0, v0
	s_sendmsg sendmsg(MSG_INTERRUPT)
.LBB4_1325:
	s_or_b64 exec, exec, s[16:17]
	s_branch .LBB4_1329
.LBB4_1326:                             ;   in Loop: Header=BB4_1329 Depth=1
	s_or_b64 exec, exec, s[16:17]
	v_readfirstlane_b32 s15, v0
	s_cmp_eq_u32 s15, 0
	s_cbranch_scc1 .LBB4_1328
; %bb.1327:                             ;   in Loop: Header=BB4_1329 Depth=1
	s_sleep 1
	s_cbranch_execnz .LBB4_1329
	s_branch .LBB4_1331
.LBB4_1328:
	s_branch .LBB4_1331
.LBB4_1329:                             ; =>This Inner Loop Header: Depth=1
	v_mov_b32_e32 v0, 1
	s_and_saveexec_b64 s[16:17], s[4:5]
	s_cbranch_execz .LBB4_1326
; %bb.1330:                             ;   in Loop: Header=BB4_1329 Depth=1
	global_load_dword v0, v[10:11], off offset:20 glc
	s_waitcnt vmcnt(0)
	buffer_wbinvl1_vol
	v_and_b32_e32 v0, 1, v0
	s_branch .LBB4_1326
.LBB4_1331:
	s_and_saveexec_b64 s[16:17], s[4:5]
	s_cbranch_execz .LBB4_1334
; %bb.1332:
	v_mov_b32_e32 v6, 0
	global_load_dwordx2 v[2:3], v6, s[36:37] offset:40
	global_load_dwordx2 v[7:8], v6, s[36:37] offset:24 glc
	global_load_dwordx2 v[4:5], v6, s[36:37]
	v_mov_b32_e32 v1, s11
	s_mov_b64 s[4:5], 0
	s_waitcnt vmcnt(2)
	v_add_co_u32_e32 v9, vcc, 1, v2
	v_addc_co_u32_e32 v10, vcc, 0, v3, vcc
	v_add_co_u32_e32 v0, vcc, s10, v9
	v_addc_co_u32_e32 v1, vcc, v10, v1, vcc
	v_cmp_eq_u64_e32 vcc, 0, v[0:1]
	v_cndmask_b32_e32 v1, v1, v10, vcc
	v_cndmask_b32_e32 v0, v0, v9, vcc
	v_and_b32_e32 v3, v1, v3
	v_and_b32_e32 v2, v0, v2
	v_mul_lo_u32 v3, v3, 24
	v_mul_hi_u32 v9, v2, 24
	v_mul_lo_u32 v10, v2, 24
	s_waitcnt vmcnt(1)
	v_mov_b32_e32 v2, v7
	v_add_u32_e32 v3, v9, v3
	s_waitcnt vmcnt(0)
	v_add_co_u32_e32 v4, vcc, v4, v10
	v_addc_co_u32_e32 v5, vcc, v5, v3, vcc
	global_store_dwordx2 v[4:5], v[7:8], off
	v_mov_b32_e32 v3, v8
	s_waitcnt vmcnt(0)
	global_atomic_cmpswap_x2 v[2:3], v6, v[0:3], s[36:37] offset:24 glc
	s_waitcnt vmcnt(0)
	v_cmp_ne_u64_e32 vcc, v[2:3], v[7:8]
	s_and_b64 exec, exec, vcc
	s_cbranch_execz .LBB4_1334
.LBB4_1333:                             ; =>This Inner Loop Header: Depth=1
	s_sleep 1
	global_store_dwordx2 v[4:5], v[2:3], off
	s_waitcnt vmcnt(0)
	global_atomic_cmpswap_x2 v[7:8], v6, v[0:3], s[36:37] offset:24 glc
	s_waitcnt vmcnt(0)
	v_cmp_eq_u64_e32 vcc, v[7:8], v[2:3]
	v_mov_b32_e32 v2, v7
	s_or_b64 s[4:5], vcc, s[4:5]
	v_mov_b32_e32 v3, v8
	s_andn2_b64 exec, exec, s[4:5]
	s_cbranch_execnz .LBB4_1333
.LBB4_1334:
	s_or_b64 exec, exec, s[16:17]
	v_readfirstlane_b32 s4, v50
	v_mov_b32_e32 v5, 0
	v_mov_b32_e32 v6, 0
	v_cmp_eq_u32_e64 s[4:5], s4, v50
	s_and_saveexec_b64 s[10:11], s[4:5]
	s_cbranch_execz .LBB4_1340
; %bb.1335:
	v_mov_b32_e32 v0, 0
	global_load_dwordx2 v[3:4], v0, s[36:37] offset:24 glc
	s_waitcnt vmcnt(0)
	buffer_wbinvl1_vol
	global_load_dwordx2 v[1:2], v0, s[36:37] offset:40
	global_load_dwordx2 v[5:6], v0, s[36:37]
	s_waitcnt vmcnt(1)
	v_and_b32_e32 v1, v1, v3
	v_and_b32_e32 v2, v2, v4
	v_mul_lo_u32 v2, v2, 24
	v_mul_hi_u32 v7, v1, 24
	v_mul_lo_u32 v1, v1, 24
	v_add_u32_e32 v2, v7, v2
	s_waitcnt vmcnt(0)
	v_add_co_u32_e32 v1, vcc, v5, v1
	v_addc_co_u32_e32 v2, vcc, v6, v2, vcc
	global_load_dwordx2 v[1:2], v[1:2], off glc
	s_waitcnt vmcnt(0)
	global_atomic_cmpswap_x2 v[5:6], v0, v[1:4], s[36:37] offset:24 glc
	s_waitcnt vmcnt(0)
	buffer_wbinvl1_vol
	v_cmp_ne_u64_e32 vcc, v[5:6], v[3:4]
	s_and_saveexec_b64 s[16:17], vcc
	s_cbranch_execz .LBB4_1339
; %bb.1336:
	s_mov_b64 s[18:19], 0
.LBB4_1337:                             ; =>This Inner Loop Header: Depth=1
	s_sleep 1
	global_load_dwordx2 v[1:2], v0, s[36:37] offset:40
	global_load_dwordx2 v[7:8], v0, s[36:37]
	v_mov_b32_e32 v3, v5
	v_mov_b32_e32 v4, v6
	s_waitcnt vmcnt(1)
	v_and_b32_e32 v1, v1, v3
	s_waitcnt vmcnt(0)
	v_mad_u64_u32 v[5:6], s[20:21], v1, 24, v[7:8]
	v_and_b32_e32 v2, v2, v4
	v_mov_b32_e32 v1, v6
	v_mad_u64_u32 v[1:2], s[20:21], v2, 24, v[1:2]
	v_mov_b32_e32 v6, v1
	global_load_dwordx2 v[1:2], v[5:6], off glc
	s_waitcnt vmcnt(0)
	global_atomic_cmpswap_x2 v[5:6], v0, v[1:4], s[36:37] offset:24 glc
	s_waitcnt vmcnt(0)
	buffer_wbinvl1_vol
	v_cmp_eq_u64_e32 vcc, v[5:6], v[3:4]
	s_or_b64 s[18:19], vcc, s[18:19]
	s_andn2_b64 exec, exec, s[18:19]
	s_cbranch_execnz .LBB4_1337
; %bb.1338:
	s_or_b64 exec, exec, s[18:19]
.LBB4_1339:
	s_or_b64 exec, exec, s[16:17]
.LBB4_1340:
	s_or_b64 exec, exec, s[10:11]
	v_mov_b32_e32 v4, 0
	global_load_dwordx2 v[7:8], v4, s[36:37] offset:40
	global_load_dwordx4 v[0:3], v4, s[36:37]
	v_readfirstlane_b32 s10, v5
	v_readfirstlane_b32 s11, v6
	s_mov_b64 s[16:17], exec
	s_waitcnt vmcnt(1)
	v_readfirstlane_b32 s18, v7
	v_readfirstlane_b32 s19, v8
	s_and_b64 s[18:19], s[10:11], s[18:19]
	s_mul_i32 s15, s19, 24
	s_mul_hi_u32 s20, s18, 24
	s_mul_i32 s21, s18, 24
	s_add_i32 s15, s20, s15
	v_mov_b32_e32 v5, s15
	s_waitcnt vmcnt(0)
	v_add_co_u32_e32 v7, vcc, s21, v0
	v_addc_co_u32_e32 v8, vcc, v1, v5, vcc
	s_and_saveexec_b64 s[20:21], s[4:5]
	s_cbranch_execz .LBB4_1342
; %bb.1341:
	v_mov_b32_e32 v9, s16
	v_mov_b32_e32 v10, s17
	;; [unrolled: 1-line block ×4, first 2 shown]
	global_store_dwordx4 v[7:8], v[9:12], off offset:8
.LBB4_1342:
	s_or_b64 exec, exec, s[20:21]
	s_lshl_b64 s[16:17], s[18:19], 12
	v_mov_b32_e32 v5, s17
	v_add_co_u32_e32 v2, vcc, s16, v2
	v_addc_co_u32_e32 v11, vcc, v3, v5, vcc
	s_mov_b32 s16, 0
	v_mov_b32_e32 v3, 33
	v_mov_b32_e32 v5, v4
	v_mov_b32_e32 v6, v4
	v_readfirstlane_b32 s20, v2
	v_readfirstlane_b32 s21, v11
	v_add_co_u32_e32 v9, vcc, v2, v39
	s_mov_b32 s17, s16
	s_mov_b32 s18, s16
	;; [unrolled: 1-line block ×3, first 2 shown]
	s_nop 0
	global_store_dwordx4 v39, v[3:6], s[20:21]
	v_mov_b32_e32 v2, s16
	v_addc_co_u32_e32 v10, vcc, 0, v11, vcc
	v_mov_b32_e32 v3, s17
	v_mov_b32_e32 v4, s18
	;; [unrolled: 1-line block ×3, first 2 shown]
	global_store_dwordx4 v39, v[2:5], s[20:21] offset:16
	global_store_dwordx4 v39, v[2:5], s[20:21] offset:32
	;; [unrolled: 1-line block ×3, first 2 shown]
	s_and_saveexec_b64 s[16:17], s[4:5]
	s_cbranch_execz .LBB4_1350
; %bb.1343:
	v_mov_b32_e32 v6, 0
	global_load_dwordx2 v[13:14], v6, s[36:37] offset:32 glc
	global_load_dwordx2 v[2:3], v6, s[36:37] offset:40
	v_mov_b32_e32 v11, s10
	v_mov_b32_e32 v12, s11
	s_waitcnt vmcnt(0)
	v_readfirstlane_b32 s18, v2
	v_readfirstlane_b32 s19, v3
	s_and_b64 s[18:19], s[18:19], s[10:11]
	s_mul_i32 s15, s19, 24
	s_mul_hi_u32 s19, s18, 24
	s_mul_i32 s18, s18, 24
	s_add_i32 s15, s19, s15
	v_mov_b32_e32 v2, s15
	v_add_co_u32_e32 v4, vcc, s18, v0
	v_addc_co_u32_e32 v5, vcc, v1, v2, vcc
	global_store_dwordx2 v[4:5], v[13:14], off
	s_waitcnt vmcnt(0)
	global_atomic_cmpswap_x2 v[2:3], v6, v[11:14], s[36:37] offset:32 glc
	s_waitcnt vmcnt(0)
	v_cmp_ne_u64_e32 vcc, v[2:3], v[13:14]
	s_and_saveexec_b64 s[18:19], vcc
	s_cbranch_execz .LBB4_1346
; %bb.1344:
	s_mov_b64 s[20:21], 0
.LBB4_1345:                             ; =>This Inner Loop Header: Depth=1
	s_sleep 1
	global_store_dwordx2 v[4:5], v[2:3], off
	v_mov_b32_e32 v0, s10
	v_mov_b32_e32 v1, s11
	s_waitcnt vmcnt(0)
	global_atomic_cmpswap_x2 v[0:1], v6, v[0:3], s[36:37] offset:32 glc
	s_waitcnt vmcnt(0)
	v_cmp_eq_u64_e32 vcc, v[0:1], v[2:3]
	v_mov_b32_e32 v3, v1
	s_or_b64 s[20:21], vcc, s[20:21]
	v_mov_b32_e32 v2, v0
	s_andn2_b64 exec, exec, s[20:21]
	s_cbranch_execnz .LBB4_1345
.LBB4_1346:
	s_or_b64 exec, exec, s[18:19]
	v_mov_b32_e32 v3, 0
	global_load_dwordx2 v[0:1], v3, s[36:37] offset:16
	s_mov_b64 s[18:19], exec
	v_mbcnt_lo_u32_b32 v2, s18, 0
	v_mbcnt_hi_u32_b32 v2, s19, v2
	v_cmp_eq_u32_e32 vcc, 0, v2
	s_and_saveexec_b64 s[20:21], vcc
	s_cbranch_execz .LBB4_1348
; %bb.1347:
	s_bcnt1_i32_b64 s15, s[18:19]
	v_mov_b32_e32 v2, s15
	s_waitcnt vmcnt(0)
	global_atomic_add_x2 v[0:1], v[2:3], off offset:8
.LBB4_1348:
	s_or_b64 exec, exec, s[20:21]
	s_waitcnt vmcnt(0)
	global_load_dwordx2 v[2:3], v[0:1], off offset:16
	s_waitcnt vmcnt(0)
	v_cmp_eq_u64_e32 vcc, 0, v[2:3]
	s_cbranch_vccnz .LBB4_1350
; %bb.1349:
	global_load_dword v0, v[0:1], off offset:24
	v_mov_b32_e32 v1, 0
	s_waitcnt vmcnt(0)
	global_store_dwordx2 v[2:3], v[0:1], off
	v_and_b32_e32 v0, 0xffffff, v0
	v_readfirstlane_b32 m0, v0
	s_sendmsg sendmsg(MSG_INTERRUPT)
.LBB4_1350:
	s_or_b64 exec, exec, s[16:17]
	s_branch .LBB4_1354
.LBB4_1351:                             ;   in Loop: Header=BB4_1354 Depth=1
	s_or_b64 exec, exec, s[16:17]
	v_readfirstlane_b32 s15, v0
	s_cmp_eq_u32 s15, 0
	s_cbranch_scc1 .LBB4_1353
; %bb.1352:                             ;   in Loop: Header=BB4_1354 Depth=1
	s_sleep 1
	s_cbranch_execnz .LBB4_1354
	s_branch .LBB4_1356
.LBB4_1353:
	s_branch .LBB4_1356
.LBB4_1354:                             ; =>This Inner Loop Header: Depth=1
	v_mov_b32_e32 v0, 1
	s_and_saveexec_b64 s[16:17], s[4:5]
	s_cbranch_execz .LBB4_1351
; %bb.1355:                             ;   in Loop: Header=BB4_1354 Depth=1
	global_load_dword v0, v[7:8], off offset:20 glc
	s_waitcnt vmcnt(0)
	buffer_wbinvl1_vol
	v_and_b32_e32 v0, 1, v0
	s_branch .LBB4_1351
.LBB4_1356:
	global_load_dwordx2 v[4:5], v[9:10], off
	s_and_saveexec_b64 s[16:17], s[4:5]
	s_cbranch_execz .LBB4_1359
; %bb.1357:
	v_mov_b32_e32 v8, 0
	global_load_dwordx2 v[2:3], v8, s[36:37] offset:40
	global_load_dwordx2 v[9:10], v8, s[36:37] offset:24 glc
	global_load_dwordx2 v[6:7], v8, s[36:37]
	v_mov_b32_e32 v1, s11
	s_mov_b64 s[4:5], 0
	s_waitcnt vmcnt(2)
	v_add_co_u32_e32 v11, vcc, 1, v2
	v_addc_co_u32_e32 v12, vcc, 0, v3, vcc
	v_add_co_u32_e32 v0, vcc, s10, v11
	v_addc_co_u32_e32 v1, vcc, v12, v1, vcc
	v_cmp_eq_u64_e32 vcc, 0, v[0:1]
	v_cndmask_b32_e32 v1, v1, v12, vcc
	v_cndmask_b32_e32 v0, v0, v11, vcc
	v_and_b32_e32 v3, v1, v3
	v_and_b32_e32 v2, v0, v2
	v_mul_lo_u32 v3, v3, 24
	v_mul_hi_u32 v11, v2, 24
	v_mul_lo_u32 v12, v2, 24
	s_waitcnt vmcnt(1)
	v_mov_b32_e32 v2, v9
	v_add_u32_e32 v3, v11, v3
	s_waitcnt vmcnt(0)
	v_add_co_u32_e32 v6, vcc, v6, v12
	v_addc_co_u32_e32 v7, vcc, v7, v3, vcc
	global_store_dwordx2 v[6:7], v[9:10], off
	v_mov_b32_e32 v3, v10
	s_waitcnt vmcnt(0)
	global_atomic_cmpswap_x2 v[2:3], v8, v[0:3], s[36:37] offset:24 glc
	s_waitcnt vmcnt(0)
	v_cmp_ne_u64_e32 vcc, v[2:3], v[9:10]
	s_and_b64 exec, exec, vcc
	s_cbranch_execz .LBB4_1359
.LBB4_1358:                             ; =>This Inner Loop Header: Depth=1
	s_sleep 1
	global_store_dwordx2 v[6:7], v[2:3], off
	s_waitcnt vmcnt(0)
	global_atomic_cmpswap_x2 v[9:10], v8, v[0:3], s[36:37] offset:24 glc
	s_waitcnt vmcnt(0)
	v_cmp_eq_u64_e32 vcc, v[9:10], v[2:3]
	v_mov_b32_e32 v2, v9
	s_or_b64 s[4:5], vcc, s[4:5]
	v_mov_b32_e32 v3, v10
	s_andn2_b64 exec, exec, s[4:5]
	s_cbranch_execnz .LBB4_1358
.LBB4_1359:
	s_or_b64 exec, exec, s[16:17]
	s_and_b64 vcc, exec, s[6:7]
	s_cbranch_vccz .LBB4_1444
; %bb.1360:
	s_waitcnt vmcnt(0)
	v_and_b32_e32 v29, 2, v4
	v_mov_b32_e32 v26, 0
	v_and_b32_e32 v0, -3, v4
	v_mov_b32_e32 v1, v5
	s_mov_b64 s[10:11], 3
	v_mov_b32_e32 v8, 2
	v_mov_b32_e32 v9, 1
	s_getpc_b64 s[6:7]
	s_add_u32 s6, s6, .str.5@rel32@lo+4
	s_addc_u32 s7, s7, .str.5@rel32@hi+12
	s_branch .LBB4_1362
.LBB4_1361:                             ;   in Loop: Header=BB4_1362 Depth=1
	s_or_b64 exec, exec, s[20:21]
	s_sub_u32 s10, s10, s16
	s_subb_u32 s11, s11, s17
	s_add_u32 s6, s6, s16
	s_addc_u32 s7, s7, s17
	s_cmp_lg_u64 s[10:11], 0
	s_cbranch_scc0 .LBB4_1443
.LBB4_1362:                             ; =>This Loop Header: Depth=1
                                        ;     Child Loop BB4_1365 Depth 2
                                        ;     Child Loop BB4_1372 Depth 2
	;; [unrolled: 1-line block ×11, first 2 shown]
	v_cmp_lt_u64_e64 s[4:5], s[10:11], 56
	v_cmp_gt_u64_e64 s[18:19], s[10:11], 7
	s_and_b64 s[4:5], s[4:5], exec
	s_cselect_b32 s17, s11, 0
	s_cselect_b32 s16, s10, 56
	s_and_b64 vcc, exec, s[18:19]
	s_cbranch_vccnz .LBB4_1367
; %bb.1363:                             ;   in Loop: Header=BB4_1362 Depth=1
	s_waitcnt vmcnt(0)
	v_mov_b32_e32 v2, 0
	s_cmp_eq_u64 s[10:11], 0
	v_mov_b32_e32 v3, 0
	s_mov_b64 s[4:5], 0
	s_cbranch_scc1 .LBB4_1366
; %bb.1364:                             ;   in Loop: Header=BB4_1362 Depth=1
	v_mov_b32_e32 v2, 0
	s_lshl_b64 s[18:19], s[16:17], 3
	s_mov_b64 s[20:21], 0
	v_mov_b32_e32 v3, 0
	s_mov_b64 s[22:23], s[6:7]
.LBB4_1365:                             ;   Parent Loop BB4_1362 Depth=1
                                        ; =>  This Inner Loop Header: Depth=2
	global_load_ubyte v6, v26, s[22:23]
	s_waitcnt vmcnt(0)
	v_and_b32_e32 v25, 0xffff, v6
	v_lshlrev_b64 v[6:7], s20, v[25:26]
	s_add_u32 s20, s20, 8
	s_addc_u32 s21, s21, 0
	s_add_u32 s22, s22, 1
	s_addc_u32 s23, s23, 0
	v_or_b32_e32 v2, v6, v2
	s_cmp_lg_u32 s18, s20
	v_or_b32_e32 v3, v7, v3
	s_cbranch_scc1 .LBB4_1365
.LBB4_1366:                             ;   in Loop: Header=BB4_1362 Depth=1
	s_mov_b32 s15, 0
	s_andn2_b64 vcc, exec, s[4:5]
	s_mov_b64 s[4:5], s[6:7]
	s_cbranch_vccz .LBB4_1368
	s_branch .LBB4_1369
.LBB4_1367:                             ;   in Loop: Header=BB4_1362 Depth=1
                                        ; implicit-def: $vgpr2_vgpr3
                                        ; implicit-def: $sgpr15
	s_mov_b64 s[4:5], s[6:7]
.LBB4_1368:                             ;   in Loop: Header=BB4_1362 Depth=1
	global_load_dwordx2 v[2:3], v26, s[6:7]
	s_add_i32 s15, s16, -8
	s_add_u32 s4, s6, 8
	s_addc_u32 s5, s7, 0
.LBB4_1369:                             ;   in Loop: Header=BB4_1362 Depth=1
	s_cmp_gt_u32 s15, 7
	s_cbranch_scc1 .LBB4_1373
; %bb.1370:                             ;   in Loop: Header=BB4_1362 Depth=1
	s_cmp_eq_u32 s15, 0
	s_cbranch_scc1 .LBB4_1374
; %bb.1371:                             ;   in Loop: Header=BB4_1362 Depth=1
	v_mov_b32_e32 v10, 0
	s_mov_b64 s[18:19], 0
	v_mov_b32_e32 v11, 0
	s_mov_b64 s[20:21], 0
.LBB4_1372:                             ;   Parent Loop BB4_1362 Depth=1
                                        ; =>  This Inner Loop Header: Depth=2
	s_add_u32 s22, s4, s20
	s_addc_u32 s23, s5, s21
	global_load_ubyte v6, v26, s[22:23]
	s_add_u32 s20, s20, 1
	s_addc_u32 s21, s21, 0
	s_waitcnt vmcnt(0)
	v_and_b32_e32 v25, 0xffff, v6
	v_lshlrev_b64 v[6:7], s18, v[25:26]
	s_add_u32 s18, s18, 8
	s_addc_u32 s19, s19, 0
	v_or_b32_e32 v10, v6, v10
	s_cmp_lg_u32 s15, s20
	v_or_b32_e32 v11, v7, v11
	s_cbranch_scc1 .LBB4_1372
	s_branch .LBB4_1375
.LBB4_1373:                             ;   in Loop: Header=BB4_1362 Depth=1
                                        ; implicit-def: $vgpr10_vgpr11
                                        ; implicit-def: $sgpr22
	s_branch .LBB4_1376
.LBB4_1374:                             ;   in Loop: Header=BB4_1362 Depth=1
	v_mov_b32_e32 v10, 0
	v_mov_b32_e32 v11, 0
.LBB4_1375:                             ;   in Loop: Header=BB4_1362 Depth=1
	s_mov_b32 s22, 0
	s_cbranch_execnz .LBB4_1377
.LBB4_1376:                             ;   in Loop: Header=BB4_1362 Depth=1
	global_load_dwordx2 v[10:11], v26, s[4:5]
	s_add_i32 s22, s15, -8
	s_add_u32 s4, s4, 8
	s_addc_u32 s5, s5, 0
.LBB4_1377:                             ;   in Loop: Header=BB4_1362 Depth=1
	s_cmp_gt_u32 s22, 7
	s_cbranch_scc1 .LBB4_1381
; %bb.1378:                             ;   in Loop: Header=BB4_1362 Depth=1
	s_cmp_eq_u32 s22, 0
	s_cbranch_scc1 .LBB4_1382
; %bb.1379:                             ;   in Loop: Header=BB4_1362 Depth=1
	v_mov_b32_e32 v12, 0
	s_mov_b64 s[18:19], 0
	v_mov_b32_e32 v13, 0
	s_mov_b64 s[20:21], 0
.LBB4_1380:                             ;   Parent Loop BB4_1362 Depth=1
                                        ; =>  This Inner Loop Header: Depth=2
	s_add_u32 s24, s4, s20
	s_addc_u32 s25, s5, s21
	global_load_ubyte v6, v26, s[24:25]
	s_add_u32 s20, s20, 1
	s_addc_u32 s21, s21, 0
	s_waitcnt vmcnt(0)
	v_and_b32_e32 v25, 0xffff, v6
	v_lshlrev_b64 v[6:7], s18, v[25:26]
	s_add_u32 s18, s18, 8
	s_addc_u32 s19, s19, 0
	v_or_b32_e32 v12, v6, v12
	s_cmp_lg_u32 s22, s20
	v_or_b32_e32 v13, v7, v13
	s_cbranch_scc1 .LBB4_1380
	s_branch .LBB4_1383
.LBB4_1381:                             ;   in Loop: Header=BB4_1362 Depth=1
                                        ; implicit-def: $sgpr15
	s_branch .LBB4_1384
.LBB4_1382:                             ;   in Loop: Header=BB4_1362 Depth=1
	v_mov_b32_e32 v12, 0
	v_mov_b32_e32 v13, 0
.LBB4_1383:                             ;   in Loop: Header=BB4_1362 Depth=1
	s_mov_b32 s15, 0
	s_cbranch_execnz .LBB4_1385
.LBB4_1384:                             ;   in Loop: Header=BB4_1362 Depth=1
	global_load_dwordx2 v[12:13], v26, s[4:5]
	s_add_i32 s15, s22, -8
	s_add_u32 s4, s4, 8
	s_addc_u32 s5, s5, 0
.LBB4_1385:                             ;   in Loop: Header=BB4_1362 Depth=1
	s_cmp_gt_u32 s15, 7
	s_cbranch_scc1 .LBB4_1389
; %bb.1386:                             ;   in Loop: Header=BB4_1362 Depth=1
	s_cmp_eq_u32 s15, 0
	s_cbranch_scc1 .LBB4_1390
; %bb.1387:                             ;   in Loop: Header=BB4_1362 Depth=1
	v_mov_b32_e32 v14, 0
	s_mov_b64 s[18:19], 0
	v_mov_b32_e32 v15, 0
	s_mov_b64 s[20:21], 0
.LBB4_1388:                             ;   Parent Loop BB4_1362 Depth=1
                                        ; =>  This Inner Loop Header: Depth=2
	s_add_u32 s22, s4, s20
	s_addc_u32 s23, s5, s21
	global_load_ubyte v6, v26, s[22:23]
	s_add_u32 s20, s20, 1
	s_addc_u32 s21, s21, 0
	s_waitcnt vmcnt(0)
	v_and_b32_e32 v25, 0xffff, v6
	v_lshlrev_b64 v[6:7], s18, v[25:26]
	s_add_u32 s18, s18, 8
	s_addc_u32 s19, s19, 0
	v_or_b32_e32 v14, v6, v14
	s_cmp_lg_u32 s15, s20
	v_or_b32_e32 v15, v7, v15
	s_cbranch_scc1 .LBB4_1388
	s_branch .LBB4_1391
.LBB4_1389:                             ;   in Loop: Header=BB4_1362 Depth=1
                                        ; implicit-def: $vgpr14_vgpr15
                                        ; implicit-def: $sgpr22
	s_branch .LBB4_1392
.LBB4_1390:                             ;   in Loop: Header=BB4_1362 Depth=1
	v_mov_b32_e32 v14, 0
	v_mov_b32_e32 v15, 0
.LBB4_1391:                             ;   in Loop: Header=BB4_1362 Depth=1
	s_mov_b32 s22, 0
	s_cbranch_execnz .LBB4_1393
.LBB4_1392:                             ;   in Loop: Header=BB4_1362 Depth=1
	global_load_dwordx2 v[14:15], v26, s[4:5]
	s_add_i32 s22, s15, -8
	s_add_u32 s4, s4, 8
	s_addc_u32 s5, s5, 0
.LBB4_1393:                             ;   in Loop: Header=BB4_1362 Depth=1
	s_cmp_gt_u32 s22, 7
	s_cbranch_scc1 .LBB4_1397
; %bb.1394:                             ;   in Loop: Header=BB4_1362 Depth=1
	s_cmp_eq_u32 s22, 0
	s_cbranch_scc1 .LBB4_1398
; %bb.1395:                             ;   in Loop: Header=BB4_1362 Depth=1
	v_mov_b32_e32 v16, 0
	s_mov_b64 s[18:19], 0
	v_mov_b32_e32 v17, 0
	s_mov_b64 s[20:21], 0
.LBB4_1396:                             ;   Parent Loop BB4_1362 Depth=1
                                        ; =>  This Inner Loop Header: Depth=2
	s_add_u32 s24, s4, s20
	s_addc_u32 s25, s5, s21
	global_load_ubyte v6, v26, s[24:25]
	s_add_u32 s20, s20, 1
	s_addc_u32 s21, s21, 0
	s_waitcnt vmcnt(0)
	v_and_b32_e32 v25, 0xffff, v6
	v_lshlrev_b64 v[6:7], s18, v[25:26]
	s_add_u32 s18, s18, 8
	s_addc_u32 s19, s19, 0
	v_or_b32_e32 v16, v6, v16
	s_cmp_lg_u32 s22, s20
	v_or_b32_e32 v17, v7, v17
	s_cbranch_scc1 .LBB4_1396
	s_branch .LBB4_1399
.LBB4_1397:                             ;   in Loop: Header=BB4_1362 Depth=1
                                        ; implicit-def: $sgpr15
	s_branch .LBB4_1400
.LBB4_1398:                             ;   in Loop: Header=BB4_1362 Depth=1
	v_mov_b32_e32 v16, 0
	v_mov_b32_e32 v17, 0
.LBB4_1399:                             ;   in Loop: Header=BB4_1362 Depth=1
	s_mov_b32 s15, 0
	s_cbranch_execnz .LBB4_1401
.LBB4_1400:                             ;   in Loop: Header=BB4_1362 Depth=1
	global_load_dwordx2 v[16:17], v26, s[4:5]
	s_add_i32 s15, s22, -8
	s_add_u32 s4, s4, 8
	s_addc_u32 s5, s5, 0
.LBB4_1401:                             ;   in Loop: Header=BB4_1362 Depth=1
	s_cmp_gt_u32 s15, 7
	s_cbranch_scc1 .LBB4_1405
; %bb.1402:                             ;   in Loop: Header=BB4_1362 Depth=1
	s_cmp_eq_u32 s15, 0
	s_cbranch_scc1 .LBB4_1406
; %bb.1403:                             ;   in Loop: Header=BB4_1362 Depth=1
	v_mov_b32_e32 v18, 0
	s_mov_b64 s[18:19], 0
	v_mov_b32_e32 v19, 0
	s_mov_b64 s[20:21], 0
.LBB4_1404:                             ;   Parent Loop BB4_1362 Depth=1
                                        ; =>  This Inner Loop Header: Depth=2
	s_add_u32 s22, s4, s20
	s_addc_u32 s23, s5, s21
	global_load_ubyte v6, v26, s[22:23]
	s_add_u32 s20, s20, 1
	s_addc_u32 s21, s21, 0
	s_waitcnt vmcnt(0)
	v_and_b32_e32 v25, 0xffff, v6
	v_lshlrev_b64 v[6:7], s18, v[25:26]
	s_add_u32 s18, s18, 8
	s_addc_u32 s19, s19, 0
	v_or_b32_e32 v18, v6, v18
	s_cmp_lg_u32 s15, s20
	v_or_b32_e32 v19, v7, v19
	s_cbranch_scc1 .LBB4_1404
	s_branch .LBB4_1407
.LBB4_1405:                             ;   in Loop: Header=BB4_1362 Depth=1
                                        ; implicit-def: $vgpr18_vgpr19
                                        ; implicit-def: $sgpr22
	s_branch .LBB4_1408
.LBB4_1406:                             ;   in Loop: Header=BB4_1362 Depth=1
	v_mov_b32_e32 v18, 0
	v_mov_b32_e32 v19, 0
.LBB4_1407:                             ;   in Loop: Header=BB4_1362 Depth=1
	s_mov_b32 s22, 0
	s_cbranch_execnz .LBB4_1409
.LBB4_1408:                             ;   in Loop: Header=BB4_1362 Depth=1
	global_load_dwordx2 v[18:19], v26, s[4:5]
	s_add_i32 s22, s15, -8
	s_add_u32 s4, s4, 8
	s_addc_u32 s5, s5, 0
.LBB4_1409:                             ;   in Loop: Header=BB4_1362 Depth=1
	s_cmp_gt_u32 s22, 7
	s_cbranch_scc1 .LBB4_1413
; %bb.1410:                             ;   in Loop: Header=BB4_1362 Depth=1
	s_cmp_eq_u32 s22, 0
	s_cbranch_scc1 .LBB4_1414
; %bb.1411:                             ;   in Loop: Header=BB4_1362 Depth=1
	v_mov_b32_e32 v20, 0
	s_mov_b64 s[18:19], 0
	v_mov_b32_e32 v21, 0
	s_mov_b64 s[20:21], s[4:5]
.LBB4_1412:                             ;   Parent Loop BB4_1362 Depth=1
                                        ; =>  This Inner Loop Header: Depth=2
	global_load_ubyte v6, v26, s[20:21]
	s_add_i32 s22, s22, -1
	s_waitcnt vmcnt(0)
	v_and_b32_e32 v25, 0xffff, v6
	v_lshlrev_b64 v[6:7], s18, v[25:26]
	s_add_u32 s18, s18, 8
	s_addc_u32 s19, s19, 0
	s_add_u32 s20, s20, 1
	s_addc_u32 s21, s21, 0
	v_or_b32_e32 v20, v6, v20
	s_cmp_lg_u32 s22, 0
	v_or_b32_e32 v21, v7, v21
	s_cbranch_scc1 .LBB4_1412
	s_branch .LBB4_1415
.LBB4_1413:                             ;   in Loop: Header=BB4_1362 Depth=1
	s_branch .LBB4_1416
.LBB4_1414:                             ;   in Loop: Header=BB4_1362 Depth=1
	v_mov_b32_e32 v20, 0
	v_mov_b32_e32 v21, 0
.LBB4_1415:                             ;   in Loop: Header=BB4_1362 Depth=1
	s_cbranch_execnz .LBB4_1417
.LBB4_1416:                             ;   in Loop: Header=BB4_1362 Depth=1
	global_load_dwordx2 v[20:21], v26, s[4:5]
.LBB4_1417:                             ;   in Loop: Header=BB4_1362 Depth=1
	v_readfirstlane_b32 s4, v50
	v_mov_b32_e32 v6, 0
	v_mov_b32_e32 v7, 0
	v_cmp_eq_u32_e64 s[4:5], s4, v50
	s_and_saveexec_b64 s[18:19], s[4:5]
	s_cbranch_execz .LBB4_1423
; %bb.1418:                             ;   in Loop: Header=BB4_1362 Depth=1
	global_load_dwordx2 v[24:25], v26, s[36:37] offset:24 glc
	s_waitcnt vmcnt(0)
	buffer_wbinvl1_vol
	global_load_dwordx2 v[6:7], v26, s[36:37] offset:40
	global_load_dwordx2 v[22:23], v26, s[36:37]
	s_waitcnt vmcnt(1)
	v_and_b32_e32 v6, v6, v24
	v_and_b32_e32 v7, v7, v25
	v_mul_lo_u32 v7, v7, 24
	v_mul_hi_u32 v27, v6, 24
	v_mul_lo_u32 v6, v6, 24
	v_add_u32_e32 v7, v27, v7
	s_waitcnt vmcnt(0)
	v_add_co_u32_e32 v6, vcc, v22, v6
	v_addc_co_u32_e32 v7, vcc, v23, v7, vcc
	global_load_dwordx2 v[22:23], v[6:7], off glc
	s_waitcnt vmcnt(0)
	global_atomic_cmpswap_x2 v[6:7], v26, v[22:25], s[36:37] offset:24 glc
	s_waitcnt vmcnt(0)
	buffer_wbinvl1_vol
	v_cmp_ne_u64_e32 vcc, v[6:7], v[24:25]
	s_and_saveexec_b64 s[20:21], vcc
	s_cbranch_execz .LBB4_1422
; %bb.1419:                             ;   in Loop: Header=BB4_1362 Depth=1
	s_mov_b64 s[22:23], 0
.LBB4_1420:                             ;   Parent Loop BB4_1362 Depth=1
                                        ; =>  This Inner Loop Header: Depth=2
	s_sleep 1
	global_load_dwordx2 v[22:23], v26, s[36:37] offset:40
	global_load_dwordx2 v[27:28], v26, s[36:37]
	v_mov_b32_e32 v25, v7
	v_mov_b32_e32 v24, v6
	s_waitcnt vmcnt(1)
	v_and_b32_e32 v6, v22, v24
	s_waitcnt vmcnt(0)
	v_mad_u64_u32 v[6:7], s[24:25], v6, 24, v[27:28]
	v_and_b32_e32 v22, v23, v25
	v_mad_u64_u32 v[22:23], s[24:25], v22, 24, v[7:8]
	v_mov_b32_e32 v7, v22
	global_load_dwordx2 v[22:23], v[6:7], off glc
	s_waitcnt vmcnt(0)
	global_atomic_cmpswap_x2 v[6:7], v26, v[22:25], s[36:37] offset:24 glc
	s_waitcnt vmcnt(0)
	buffer_wbinvl1_vol
	v_cmp_eq_u64_e32 vcc, v[6:7], v[24:25]
	s_or_b64 s[22:23], vcc, s[22:23]
	s_andn2_b64 exec, exec, s[22:23]
	s_cbranch_execnz .LBB4_1420
; %bb.1421:                             ;   in Loop: Header=BB4_1362 Depth=1
	s_or_b64 exec, exec, s[22:23]
.LBB4_1422:                             ;   in Loop: Header=BB4_1362 Depth=1
	s_or_b64 exec, exec, s[20:21]
.LBB4_1423:                             ;   in Loop: Header=BB4_1362 Depth=1
	s_or_b64 exec, exec, s[18:19]
	global_load_dwordx2 v[27:28], v26, s[36:37] offset:40
	global_load_dwordx4 v[22:25], v26, s[36:37]
	v_readfirstlane_b32 s18, v6
	v_readfirstlane_b32 s19, v7
	s_mov_b64 s[20:21], exec
	s_waitcnt vmcnt(1)
	v_readfirstlane_b32 s22, v27
	v_readfirstlane_b32 s23, v28
	s_and_b64 s[22:23], s[18:19], s[22:23]
	s_mul_i32 s15, s23, 24
	s_mul_hi_u32 s24, s22, 24
	s_mul_i32 s25, s22, 24
	s_add_i32 s15, s24, s15
	v_mov_b32_e32 v6, s15
	s_waitcnt vmcnt(0)
	v_add_co_u32_e32 v27, vcc, s25, v22
	v_addc_co_u32_e32 v28, vcc, v23, v6, vcc
	s_and_saveexec_b64 s[24:25], s[4:5]
	s_cbranch_execz .LBB4_1425
; %bb.1424:                             ;   in Loop: Header=BB4_1362 Depth=1
	v_mov_b32_e32 v6, s20
	v_mov_b32_e32 v7, s21
	global_store_dwordx4 v[27:28], v[6:9], off offset:8
.LBB4_1425:                             ;   in Loop: Header=BB4_1362 Depth=1
	s_or_b64 exec, exec, s[24:25]
	s_lshl_b64 s[20:21], s[22:23], 12
	v_mov_b32_e32 v6, s21
	v_add_co_u32_e32 v24, vcc, s20, v24
	v_addc_co_u32_e32 v30, vcc, v25, v6, vcc
	v_cmp_gt_u64_e64 vcc, s[10:11], 56
	v_or_b32_e32 v7, v0, v29
	s_lshl_b32 s15, s16, 2
	v_cndmask_b32_e32 v0, v7, v0, vcc
	s_add_i32 s15, s15, 28
	v_or_b32_e32 v6, 0, v1
	s_and_b32 s15, s15, 0x1e0
	v_and_b32_e32 v0, 0xffffff1f, v0
	v_cndmask_b32_e32 v1, v6, v1, vcc
	v_or_b32_e32 v0, s15, v0
	v_readfirstlane_b32 s20, v24
	v_readfirstlane_b32 s21, v30
	s_nop 4
	global_store_dwordx4 v39, v[0:3], s[20:21]
	global_store_dwordx4 v39, v[10:13], s[20:21] offset:16
	global_store_dwordx4 v39, v[14:17], s[20:21] offset:32
	;; [unrolled: 1-line block ×3, first 2 shown]
	s_and_saveexec_b64 s[20:21], s[4:5]
	s_cbranch_execz .LBB4_1433
; %bb.1426:                             ;   in Loop: Header=BB4_1362 Depth=1
	global_load_dwordx2 v[12:13], v26, s[36:37] offset:32 glc
	global_load_dwordx2 v[0:1], v26, s[36:37] offset:40
	v_mov_b32_e32 v10, s18
	v_mov_b32_e32 v11, s19
	s_waitcnt vmcnt(0)
	v_readfirstlane_b32 s22, v0
	v_readfirstlane_b32 s23, v1
	s_and_b64 s[22:23], s[22:23], s[18:19]
	s_mul_i32 s15, s23, 24
	s_mul_hi_u32 s23, s22, 24
	s_mul_i32 s22, s22, 24
	s_add_i32 s15, s23, s15
	v_mov_b32_e32 v0, s15
	v_add_co_u32_e32 v6, vcc, s22, v22
	v_addc_co_u32_e32 v7, vcc, v23, v0, vcc
	global_store_dwordx2 v[6:7], v[12:13], off
	s_waitcnt vmcnt(0)
	global_atomic_cmpswap_x2 v[2:3], v26, v[10:13], s[36:37] offset:32 glc
	s_waitcnt vmcnt(0)
	v_cmp_ne_u64_e32 vcc, v[2:3], v[12:13]
	s_and_saveexec_b64 s[22:23], vcc
	s_cbranch_execz .LBB4_1429
; %bb.1427:                             ;   in Loop: Header=BB4_1362 Depth=1
	s_mov_b64 s[24:25], 0
.LBB4_1428:                             ;   Parent Loop BB4_1362 Depth=1
                                        ; =>  This Inner Loop Header: Depth=2
	s_sleep 1
	global_store_dwordx2 v[6:7], v[2:3], off
	v_mov_b32_e32 v0, s18
	v_mov_b32_e32 v1, s19
	s_waitcnt vmcnt(0)
	global_atomic_cmpswap_x2 v[0:1], v26, v[0:3], s[36:37] offset:32 glc
	s_waitcnt vmcnt(0)
	v_cmp_eq_u64_e32 vcc, v[0:1], v[2:3]
	v_mov_b32_e32 v3, v1
	s_or_b64 s[24:25], vcc, s[24:25]
	v_mov_b32_e32 v2, v0
	s_andn2_b64 exec, exec, s[24:25]
	s_cbranch_execnz .LBB4_1428
.LBB4_1429:                             ;   in Loop: Header=BB4_1362 Depth=1
	s_or_b64 exec, exec, s[22:23]
	global_load_dwordx2 v[0:1], v26, s[36:37] offset:16
	s_mov_b64 s[24:25], exec
	v_mbcnt_lo_u32_b32 v2, s24, 0
	v_mbcnt_hi_u32_b32 v2, s25, v2
	v_cmp_eq_u32_e32 vcc, 0, v2
	s_and_saveexec_b64 s[22:23], vcc
	s_cbranch_execz .LBB4_1431
; %bb.1430:                             ;   in Loop: Header=BB4_1362 Depth=1
	s_bcnt1_i32_b64 s15, s[24:25]
	v_mov_b32_e32 v25, s15
	s_waitcnt vmcnt(0)
	global_atomic_add_x2 v[0:1], v[25:26], off offset:8
.LBB4_1431:                             ;   in Loop: Header=BB4_1362 Depth=1
	s_or_b64 exec, exec, s[22:23]
	s_waitcnt vmcnt(0)
	global_load_dwordx2 v[2:3], v[0:1], off offset:16
	s_waitcnt vmcnt(0)
	v_cmp_eq_u64_e32 vcc, 0, v[2:3]
	s_cbranch_vccnz .LBB4_1433
; %bb.1432:                             ;   in Loop: Header=BB4_1362 Depth=1
	global_load_dword v25, v[0:1], off offset:24
	s_waitcnt vmcnt(0)
	v_and_b32_e32 v0, 0xffffff, v25
	v_readfirstlane_b32 m0, v0
	global_store_dwordx2 v[2:3], v[25:26], off
	s_sendmsg sendmsg(MSG_INTERRUPT)
.LBB4_1433:                             ;   in Loop: Header=BB4_1362 Depth=1
	s_or_b64 exec, exec, s[20:21]
	v_add_co_u32_e32 v0, vcc, v24, v39
	v_addc_co_u32_e32 v1, vcc, 0, v30, vcc
	s_branch .LBB4_1437
.LBB4_1434:                             ;   in Loop: Header=BB4_1437 Depth=2
	s_or_b64 exec, exec, s[20:21]
	v_readfirstlane_b32 s15, v2
	s_cmp_eq_u32 s15, 0
	s_cbranch_scc1 .LBB4_1436
; %bb.1435:                             ;   in Loop: Header=BB4_1437 Depth=2
	s_sleep 1
	s_cbranch_execnz .LBB4_1437
	s_branch .LBB4_1439
.LBB4_1436:                             ;   in Loop: Header=BB4_1362 Depth=1
	s_branch .LBB4_1439
.LBB4_1437:                             ;   Parent Loop BB4_1362 Depth=1
                                        ; =>  This Inner Loop Header: Depth=2
	v_mov_b32_e32 v2, 1
	s_and_saveexec_b64 s[20:21], s[4:5]
	s_cbranch_execz .LBB4_1434
; %bb.1438:                             ;   in Loop: Header=BB4_1437 Depth=2
	global_load_dword v2, v[27:28], off offset:20 glc
	s_waitcnt vmcnt(0)
	buffer_wbinvl1_vol
	v_and_b32_e32 v2, 1, v2
	s_branch .LBB4_1434
.LBB4_1439:                             ;   in Loop: Header=BB4_1362 Depth=1
	global_load_dwordx4 v[0:3], v[0:1], off
	s_and_saveexec_b64 s[20:21], s[4:5]
	s_cbranch_execz .LBB4_1361
; %bb.1440:                             ;   in Loop: Header=BB4_1362 Depth=1
	global_load_dwordx2 v[2:3], v26, s[36:37] offset:40
	global_load_dwordx2 v[6:7], v26, s[36:37] offset:24 glc
	global_load_dwordx2 v[13:14], v26, s[36:37]
	v_mov_b32_e32 v11, s19
	s_waitcnt vmcnt(2)
	v_add_co_u32_e32 v12, vcc, 1, v2
	v_addc_co_u32_e32 v15, vcc, 0, v3, vcc
	v_add_co_u32_e32 v10, vcc, s18, v12
	v_addc_co_u32_e32 v11, vcc, v15, v11, vcc
	v_cmp_eq_u64_e32 vcc, 0, v[10:11]
	v_cndmask_b32_e32 v11, v11, v15, vcc
	v_cndmask_b32_e32 v10, v10, v12, vcc
	v_and_b32_e32 v3, v11, v3
	v_and_b32_e32 v2, v10, v2
	v_mul_lo_u32 v3, v3, 24
	v_mul_hi_u32 v15, v2, 24
	v_mul_lo_u32 v2, v2, 24
	s_waitcnt vmcnt(1)
	v_mov_b32_e32 v12, v6
	v_add_u32_e32 v3, v15, v3
	s_waitcnt vmcnt(0)
	v_add_co_u32_e32 v2, vcc, v13, v2
	v_addc_co_u32_e32 v3, vcc, v14, v3, vcc
	global_store_dwordx2 v[2:3], v[6:7], off
	v_mov_b32_e32 v13, v7
	s_waitcnt vmcnt(0)
	global_atomic_cmpswap_x2 v[12:13], v26, v[10:13], s[36:37] offset:24 glc
	s_waitcnt vmcnt(0)
	v_cmp_ne_u64_e32 vcc, v[12:13], v[6:7]
	s_and_b64 exec, exec, vcc
	s_cbranch_execz .LBB4_1361
; %bb.1441:                             ;   in Loop: Header=BB4_1362 Depth=1
	s_mov_b64 s[4:5], 0
.LBB4_1442:                             ;   Parent Loop BB4_1362 Depth=1
                                        ; =>  This Inner Loop Header: Depth=2
	s_sleep 1
	global_store_dwordx2 v[2:3], v[12:13], off
	s_waitcnt vmcnt(0)
	global_atomic_cmpswap_x2 v[6:7], v26, v[10:13], s[36:37] offset:24 glc
	s_waitcnt vmcnt(0)
	v_cmp_eq_u64_e32 vcc, v[6:7], v[12:13]
	v_mov_b32_e32 v13, v7
	s_or_b64 s[4:5], vcc, s[4:5]
	v_mov_b32_e32 v12, v6
	s_andn2_b64 exec, exec, s[4:5]
	s_cbranch_execnz .LBB4_1442
	s_branch .LBB4_1361
.LBB4_1443:
	s_branch .LBB4_1471
.LBB4_1444:
                                        ; implicit-def: $vgpr0_vgpr1
	s_cbranch_execz .LBB4_1471
; %bb.1445:
	v_readfirstlane_b32 s4, v50
	v_mov_b32_e32 v7, 0
	v_mov_b32_e32 v8, 0
	v_cmp_eq_u32_e64 s[4:5], s4, v50
	s_and_saveexec_b64 s[6:7], s[4:5]
	s_cbranch_execz .LBB4_1451
; %bb.1446:
	s_waitcnt vmcnt(0)
	v_mov_b32_e32 v0, 0
	global_load_dwordx2 v[9:10], v0, s[36:37] offset:24 glc
	s_waitcnt vmcnt(0)
	buffer_wbinvl1_vol
	global_load_dwordx2 v[1:2], v0, s[36:37] offset:40
	global_load_dwordx2 v[6:7], v0, s[36:37]
	s_waitcnt vmcnt(1)
	v_and_b32_e32 v1, v1, v9
	v_and_b32_e32 v2, v2, v10
	v_mul_lo_u32 v2, v2, 24
	v_mul_hi_u32 v3, v1, 24
	v_mul_lo_u32 v1, v1, 24
	v_add_u32_e32 v2, v3, v2
	s_waitcnt vmcnt(0)
	v_add_co_u32_e32 v1, vcc, v6, v1
	v_addc_co_u32_e32 v2, vcc, v7, v2, vcc
	global_load_dwordx2 v[7:8], v[1:2], off glc
	s_waitcnt vmcnt(0)
	global_atomic_cmpswap_x2 v[7:8], v0, v[7:10], s[36:37] offset:24 glc
	s_waitcnt vmcnt(0)
	buffer_wbinvl1_vol
	v_cmp_ne_u64_e32 vcc, v[7:8], v[9:10]
	s_and_saveexec_b64 s[10:11], vcc
	s_cbranch_execz .LBB4_1450
; %bb.1447:
	s_mov_b64 s[16:17], 0
.LBB4_1448:                             ; =>This Inner Loop Header: Depth=1
	s_sleep 1
	global_load_dwordx2 v[1:2], v0, s[36:37] offset:40
	global_load_dwordx2 v[11:12], v0, s[36:37]
	v_mov_b32_e32 v10, v8
	v_mov_b32_e32 v9, v7
	s_waitcnt vmcnt(1)
	v_and_b32_e32 v1, v1, v9
	s_waitcnt vmcnt(0)
	v_mad_u64_u32 v[6:7], s[18:19], v1, 24, v[11:12]
	v_and_b32_e32 v2, v2, v10
	v_mov_b32_e32 v1, v7
	v_mad_u64_u32 v[1:2], s[18:19], v2, 24, v[1:2]
	v_mov_b32_e32 v7, v1
	global_load_dwordx2 v[7:8], v[6:7], off glc
	s_waitcnt vmcnt(0)
	global_atomic_cmpswap_x2 v[7:8], v0, v[7:10], s[36:37] offset:24 glc
	s_waitcnt vmcnt(0)
	buffer_wbinvl1_vol
	v_cmp_eq_u64_e32 vcc, v[7:8], v[9:10]
	s_or_b64 s[16:17], vcc, s[16:17]
	s_andn2_b64 exec, exec, s[16:17]
	s_cbranch_execnz .LBB4_1448
; %bb.1449:
	s_or_b64 exec, exec, s[16:17]
.LBB4_1450:
	s_or_b64 exec, exec, s[10:11]
.LBB4_1451:
	s_or_b64 exec, exec, s[6:7]
	v_mov_b32_e32 v6, 0
	global_load_dwordx2 v[9:10], v6, s[36:37] offset:40
	global_load_dwordx4 v[0:3], v6, s[36:37]
	v_readfirstlane_b32 s6, v7
	v_readfirstlane_b32 s7, v8
	s_mov_b64 s[10:11], exec
	s_waitcnt vmcnt(1)
	v_readfirstlane_b32 s16, v9
	v_readfirstlane_b32 s17, v10
	s_and_b64 s[16:17], s[6:7], s[16:17]
	s_mul_i32 s15, s17, 24
	s_mul_hi_u32 s18, s16, 24
	s_mul_i32 s19, s16, 24
	s_add_i32 s15, s18, s15
	v_mov_b32_e32 v7, s15
	s_waitcnt vmcnt(0)
	v_add_co_u32_e32 v8, vcc, s19, v0
	v_addc_co_u32_e32 v9, vcc, v1, v7, vcc
	s_and_saveexec_b64 s[18:19], s[4:5]
	s_cbranch_execz .LBB4_1453
; %bb.1452:
	v_mov_b32_e32 v10, s10
	v_mov_b32_e32 v11, s11
	;; [unrolled: 1-line block ×4, first 2 shown]
	global_store_dwordx4 v[8:9], v[10:13], off offset:8
.LBB4_1453:
	s_or_b64 exec, exec, s[18:19]
	s_lshl_b64 s[10:11], s[16:17], 12
	v_mov_b32_e32 v7, s11
	v_add_co_u32_e32 v2, vcc, s10, v2
	v_addc_co_u32_e32 v3, vcc, v3, v7, vcc
	s_movk_i32 s10, 0xff1f
	v_and_or_b32 v4, v4, s10, 32
	v_add_co_u32_e32 v10, vcc, v2, v39
	s_mov_b32 s16, 0
	v_mov_b32_e32 v7, v6
	v_readfirstlane_b32 s10, v2
	v_readfirstlane_b32 s11, v3
	v_addc_co_u32_e32 v11, vcc, 0, v3, vcc
	s_mov_b32 s17, s16
	s_mov_b32 s18, s16
	;; [unrolled: 1-line block ×3, first 2 shown]
	s_nop 0
	global_store_dwordx4 v39, v[4:7], s[10:11]
	v_mov_b32_e32 v2, s16
	v_mov_b32_e32 v3, s17
	;; [unrolled: 1-line block ×4, first 2 shown]
	global_store_dwordx4 v39, v[2:5], s[10:11] offset:16
	global_store_dwordx4 v39, v[2:5], s[10:11] offset:32
	;; [unrolled: 1-line block ×3, first 2 shown]
	s_and_saveexec_b64 s[10:11], s[4:5]
	s_cbranch_execz .LBB4_1461
; %bb.1454:
	v_mov_b32_e32 v6, 0
	global_load_dwordx2 v[14:15], v6, s[36:37] offset:32 glc
	global_load_dwordx2 v[2:3], v6, s[36:37] offset:40
	v_mov_b32_e32 v12, s6
	v_mov_b32_e32 v13, s7
	s_waitcnt vmcnt(0)
	v_readfirstlane_b32 s16, v2
	v_readfirstlane_b32 s17, v3
	s_and_b64 s[16:17], s[16:17], s[6:7]
	s_mul_i32 s15, s17, 24
	s_mul_hi_u32 s17, s16, 24
	s_mul_i32 s16, s16, 24
	s_add_i32 s15, s17, s15
	v_mov_b32_e32 v2, s15
	v_add_co_u32_e32 v4, vcc, s16, v0
	v_addc_co_u32_e32 v5, vcc, v1, v2, vcc
	global_store_dwordx2 v[4:5], v[14:15], off
	s_waitcnt vmcnt(0)
	global_atomic_cmpswap_x2 v[2:3], v6, v[12:15], s[36:37] offset:32 glc
	s_waitcnt vmcnt(0)
	v_cmp_ne_u64_e32 vcc, v[2:3], v[14:15]
	s_and_saveexec_b64 s[16:17], vcc
	s_cbranch_execz .LBB4_1457
; %bb.1455:
	s_mov_b64 s[18:19], 0
.LBB4_1456:                             ; =>This Inner Loop Header: Depth=1
	s_sleep 1
	global_store_dwordx2 v[4:5], v[2:3], off
	v_mov_b32_e32 v0, s6
	v_mov_b32_e32 v1, s7
	s_waitcnt vmcnt(0)
	global_atomic_cmpswap_x2 v[0:1], v6, v[0:3], s[36:37] offset:32 glc
	s_waitcnt vmcnt(0)
	v_cmp_eq_u64_e32 vcc, v[0:1], v[2:3]
	v_mov_b32_e32 v3, v1
	s_or_b64 s[18:19], vcc, s[18:19]
	v_mov_b32_e32 v2, v0
	s_andn2_b64 exec, exec, s[18:19]
	s_cbranch_execnz .LBB4_1456
.LBB4_1457:
	s_or_b64 exec, exec, s[16:17]
	v_mov_b32_e32 v3, 0
	global_load_dwordx2 v[0:1], v3, s[36:37] offset:16
	s_mov_b64 s[16:17], exec
	v_mbcnt_lo_u32_b32 v2, s16, 0
	v_mbcnt_hi_u32_b32 v2, s17, v2
	v_cmp_eq_u32_e32 vcc, 0, v2
	s_and_saveexec_b64 s[18:19], vcc
	s_cbranch_execz .LBB4_1459
; %bb.1458:
	s_bcnt1_i32_b64 s15, s[16:17]
	v_mov_b32_e32 v2, s15
	s_waitcnt vmcnt(0)
	global_atomic_add_x2 v[0:1], v[2:3], off offset:8
.LBB4_1459:
	s_or_b64 exec, exec, s[18:19]
	s_waitcnt vmcnt(0)
	global_load_dwordx2 v[2:3], v[0:1], off offset:16
	s_waitcnt vmcnt(0)
	v_cmp_eq_u64_e32 vcc, 0, v[2:3]
	s_cbranch_vccnz .LBB4_1461
; %bb.1460:
	global_load_dword v0, v[0:1], off offset:24
	v_mov_b32_e32 v1, 0
	s_waitcnt vmcnt(0)
	global_store_dwordx2 v[2:3], v[0:1], off
	v_and_b32_e32 v0, 0xffffff, v0
	v_readfirstlane_b32 m0, v0
	s_sendmsg sendmsg(MSG_INTERRUPT)
.LBB4_1461:
	s_or_b64 exec, exec, s[10:11]
	s_branch .LBB4_1465
.LBB4_1462:                             ;   in Loop: Header=BB4_1465 Depth=1
	s_or_b64 exec, exec, s[10:11]
	v_readfirstlane_b32 s10, v0
	s_cmp_eq_u32 s10, 0
	s_cbranch_scc1 .LBB4_1464
; %bb.1463:                             ;   in Loop: Header=BB4_1465 Depth=1
	s_sleep 1
	s_cbranch_execnz .LBB4_1465
	s_branch .LBB4_1467
.LBB4_1464:
	s_branch .LBB4_1467
.LBB4_1465:                             ; =>This Inner Loop Header: Depth=1
	v_mov_b32_e32 v0, 1
	s_and_saveexec_b64 s[10:11], s[4:5]
	s_cbranch_execz .LBB4_1462
; %bb.1466:                             ;   in Loop: Header=BB4_1465 Depth=1
	global_load_dword v0, v[8:9], off offset:20 glc
	s_waitcnt vmcnt(0)
	buffer_wbinvl1_vol
	v_and_b32_e32 v0, 1, v0
	s_branch .LBB4_1462
.LBB4_1467:
	global_load_dwordx2 v[0:1], v[10:11], off
	s_and_saveexec_b64 s[10:11], s[4:5]
	s_cbranch_execz .LBB4_1470
; %bb.1468:
	v_mov_b32_e32 v8, 0
	global_load_dwordx2 v[4:5], v8, s[36:37] offset:40
	global_load_dwordx2 v[9:10], v8, s[36:37] offset:24 glc
	global_load_dwordx2 v[6:7], v8, s[36:37]
	v_mov_b32_e32 v3, s7
	s_mov_b64 s[4:5], 0
	s_waitcnt vmcnt(2)
	v_add_co_u32_e32 v11, vcc, 1, v4
	v_addc_co_u32_e32 v12, vcc, 0, v5, vcc
	v_add_co_u32_e32 v2, vcc, s6, v11
	v_addc_co_u32_e32 v3, vcc, v12, v3, vcc
	v_cmp_eq_u64_e32 vcc, 0, v[2:3]
	v_cndmask_b32_e32 v3, v3, v12, vcc
	v_cndmask_b32_e32 v2, v2, v11, vcc
	v_and_b32_e32 v5, v3, v5
	v_and_b32_e32 v4, v2, v4
	v_mul_lo_u32 v5, v5, 24
	v_mul_hi_u32 v11, v4, 24
	v_mul_lo_u32 v12, v4, 24
	s_waitcnt vmcnt(1)
	v_mov_b32_e32 v4, v9
	v_add_u32_e32 v5, v11, v5
	s_waitcnt vmcnt(0)
	v_add_co_u32_e32 v6, vcc, v6, v12
	v_addc_co_u32_e32 v7, vcc, v7, v5, vcc
	global_store_dwordx2 v[6:7], v[9:10], off
	v_mov_b32_e32 v5, v10
	s_waitcnt vmcnt(0)
	global_atomic_cmpswap_x2 v[4:5], v8, v[2:5], s[36:37] offset:24 glc
	s_waitcnt vmcnt(0)
	v_cmp_ne_u64_e32 vcc, v[4:5], v[9:10]
	s_and_b64 exec, exec, vcc
	s_cbranch_execz .LBB4_1470
.LBB4_1469:                             ; =>This Inner Loop Header: Depth=1
	s_sleep 1
	global_store_dwordx2 v[6:7], v[4:5], off
	s_waitcnt vmcnt(0)
	global_atomic_cmpswap_x2 v[9:10], v8, v[2:5], s[36:37] offset:24 glc
	s_waitcnt vmcnt(0)
	v_cmp_eq_u64_e32 vcc, v[9:10], v[4:5]
	v_mov_b32_e32 v4, v9
	s_or_b64 s[4:5], vcc, s[4:5]
	v_mov_b32_e32 v5, v10
	s_andn2_b64 exec, exec, s[4:5]
	s_cbranch_execnz .LBB4_1469
.LBB4_1470:
	s_or_b64 exec, exec, s[10:11]
.LBB4_1471:
	s_getpc_b64 s[6:7]
	s_add_u32 s6, s6, .str.2@rel32@lo+4
	s_addc_u32 s7, s7, .str.2@rel32@hi+12
	s_cmp_lg_u64 s[6:7], 0
	s_cbranch_scc0 .LBB4_1556
; %bb.1472:
	s_waitcnt vmcnt(0)
	v_and_b32_e32 v6, -3, v0
	v_mov_b32_e32 v7, v1
	s_mov_b64 s[10:11], 13
	v_mov_b32_e32 v26, 0
	v_mov_b32_e32 v4, 2
	;; [unrolled: 1-line block ×3, first 2 shown]
	s_branch .LBB4_1474
.LBB4_1473:                             ;   in Loop: Header=BB4_1474 Depth=1
	s_or_b64 exec, exec, s[20:21]
	s_sub_u32 s10, s10, s16
	s_subb_u32 s11, s11, s17
	s_add_u32 s6, s6, s16
	s_addc_u32 s7, s7, s17
	s_cmp_lg_u64 s[10:11], 0
	s_cbranch_scc0 .LBB4_1555
.LBB4_1474:                             ; =>This Loop Header: Depth=1
                                        ;     Child Loop BB4_1477 Depth 2
                                        ;     Child Loop BB4_1484 Depth 2
	;; [unrolled: 1-line block ×11, first 2 shown]
	v_cmp_lt_u64_e64 s[4:5], s[10:11], 56
	v_cmp_gt_u64_e64 s[18:19], s[10:11], 7
	s_and_b64 s[4:5], s[4:5], exec
	s_cselect_b32 s17, s11, 0
	s_cselect_b32 s16, s10, 56
	s_and_b64 vcc, exec, s[18:19]
	s_cbranch_vccnz .LBB4_1479
; %bb.1475:                             ;   in Loop: Header=BB4_1474 Depth=1
	s_waitcnt vmcnt(0)
	v_mov_b32_e32 v8, 0
	s_cmp_eq_u64 s[10:11], 0
	v_mov_b32_e32 v9, 0
	s_mov_b64 s[4:5], 0
	s_cbranch_scc1 .LBB4_1478
; %bb.1476:                             ;   in Loop: Header=BB4_1474 Depth=1
	v_mov_b32_e32 v8, 0
	s_lshl_b64 s[18:19], s[16:17], 3
	s_mov_b64 s[20:21], 0
	v_mov_b32_e32 v9, 0
	s_mov_b64 s[22:23], s[6:7]
.LBB4_1477:                             ;   Parent Loop BB4_1474 Depth=1
                                        ; =>  This Inner Loop Header: Depth=2
	global_load_ubyte v2, v26, s[22:23]
	s_waitcnt vmcnt(0)
	v_and_b32_e32 v25, 0xffff, v2
	v_lshlrev_b64 v[2:3], s20, v[25:26]
	s_add_u32 s20, s20, 8
	s_addc_u32 s21, s21, 0
	s_add_u32 s22, s22, 1
	s_addc_u32 s23, s23, 0
	v_or_b32_e32 v8, v2, v8
	s_cmp_lg_u32 s18, s20
	v_or_b32_e32 v9, v3, v9
	s_cbranch_scc1 .LBB4_1477
.LBB4_1478:                             ;   in Loop: Header=BB4_1474 Depth=1
	s_mov_b32 s15, 0
	s_andn2_b64 vcc, exec, s[4:5]
	s_mov_b64 s[4:5], s[6:7]
	s_cbranch_vccz .LBB4_1480
	s_branch .LBB4_1481
.LBB4_1479:                             ;   in Loop: Header=BB4_1474 Depth=1
                                        ; implicit-def: $sgpr15
	s_mov_b64 s[4:5], s[6:7]
.LBB4_1480:                             ;   in Loop: Header=BB4_1474 Depth=1
	global_load_dwordx2 v[8:9], v26, s[6:7]
	s_add_i32 s15, s16, -8
	s_add_u32 s4, s6, 8
	s_addc_u32 s5, s7, 0
.LBB4_1481:                             ;   in Loop: Header=BB4_1474 Depth=1
	s_cmp_gt_u32 s15, 7
	s_cbranch_scc1 .LBB4_1485
; %bb.1482:                             ;   in Loop: Header=BB4_1474 Depth=1
	s_cmp_eq_u32 s15, 0
	s_cbranch_scc1 .LBB4_1486
; %bb.1483:                             ;   in Loop: Header=BB4_1474 Depth=1
	v_mov_b32_e32 v10, 0
	s_mov_b64 s[18:19], 0
	v_mov_b32_e32 v11, 0
	s_mov_b64 s[20:21], 0
.LBB4_1484:                             ;   Parent Loop BB4_1474 Depth=1
                                        ; =>  This Inner Loop Header: Depth=2
	s_add_u32 s22, s4, s20
	s_addc_u32 s23, s5, s21
	global_load_ubyte v2, v26, s[22:23]
	s_add_u32 s20, s20, 1
	s_addc_u32 s21, s21, 0
	s_waitcnt vmcnt(0)
	v_and_b32_e32 v25, 0xffff, v2
	v_lshlrev_b64 v[2:3], s18, v[25:26]
	s_add_u32 s18, s18, 8
	s_addc_u32 s19, s19, 0
	v_or_b32_e32 v10, v2, v10
	s_cmp_lg_u32 s15, s20
	v_or_b32_e32 v11, v3, v11
	s_cbranch_scc1 .LBB4_1484
	s_branch .LBB4_1487
.LBB4_1485:                             ;   in Loop: Header=BB4_1474 Depth=1
                                        ; implicit-def: $vgpr10_vgpr11
                                        ; implicit-def: $sgpr22
	s_branch .LBB4_1488
.LBB4_1486:                             ;   in Loop: Header=BB4_1474 Depth=1
	v_mov_b32_e32 v10, 0
	v_mov_b32_e32 v11, 0
.LBB4_1487:                             ;   in Loop: Header=BB4_1474 Depth=1
	s_mov_b32 s22, 0
	s_cbranch_execnz .LBB4_1489
.LBB4_1488:                             ;   in Loop: Header=BB4_1474 Depth=1
	global_load_dwordx2 v[10:11], v26, s[4:5]
	s_add_i32 s22, s15, -8
	s_add_u32 s4, s4, 8
	s_addc_u32 s5, s5, 0
.LBB4_1489:                             ;   in Loop: Header=BB4_1474 Depth=1
	s_cmp_gt_u32 s22, 7
	s_cbranch_scc1 .LBB4_1493
; %bb.1490:                             ;   in Loop: Header=BB4_1474 Depth=1
	s_cmp_eq_u32 s22, 0
	s_cbranch_scc1 .LBB4_1494
; %bb.1491:                             ;   in Loop: Header=BB4_1474 Depth=1
	v_mov_b32_e32 v12, 0
	s_mov_b64 s[18:19], 0
	v_mov_b32_e32 v13, 0
	s_mov_b64 s[20:21], 0
.LBB4_1492:                             ;   Parent Loop BB4_1474 Depth=1
                                        ; =>  This Inner Loop Header: Depth=2
	s_add_u32 s24, s4, s20
	s_addc_u32 s25, s5, s21
	global_load_ubyte v2, v26, s[24:25]
	s_add_u32 s20, s20, 1
	s_addc_u32 s21, s21, 0
	s_waitcnt vmcnt(0)
	v_and_b32_e32 v25, 0xffff, v2
	v_lshlrev_b64 v[2:3], s18, v[25:26]
	s_add_u32 s18, s18, 8
	s_addc_u32 s19, s19, 0
	v_or_b32_e32 v12, v2, v12
	s_cmp_lg_u32 s22, s20
	v_or_b32_e32 v13, v3, v13
	s_cbranch_scc1 .LBB4_1492
	s_branch .LBB4_1495
.LBB4_1493:                             ;   in Loop: Header=BB4_1474 Depth=1
                                        ; implicit-def: $sgpr15
	s_branch .LBB4_1496
.LBB4_1494:                             ;   in Loop: Header=BB4_1474 Depth=1
	v_mov_b32_e32 v12, 0
	v_mov_b32_e32 v13, 0
.LBB4_1495:                             ;   in Loop: Header=BB4_1474 Depth=1
	s_mov_b32 s15, 0
	s_cbranch_execnz .LBB4_1497
.LBB4_1496:                             ;   in Loop: Header=BB4_1474 Depth=1
	global_load_dwordx2 v[12:13], v26, s[4:5]
	s_add_i32 s15, s22, -8
	s_add_u32 s4, s4, 8
	s_addc_u32 s5, s5, 0
.LBB4_1497:                             ;   in Loop: Header=BB4_1474 Depth=1
	s_cmp_gt_u32 s15, 7
	s_cbranch_scc1 .LBB4_1501
; %bb.1498:                             ;   in Loop: Header=BB4_1474 Depth=1
	s_cmp_eq_u32 s15, 0
	s_cbranch_scc1 .LBB4_1502
; %bb.1499:                             ;   in Loop: Header=BB4_1474 Depth=1
	v_mov_b32_e32 v14, 0
	s_mov_b64 s[18:19], 0
	v_mov_b32_e32 v15, 0
	s_mov_b64 s[20:21], 0
.LBB4_1500:                             ;   Parent Loop BB4_1474 Depth=1
                                        ; =>  This Inner Loop Header: Depth=2
	s_add_u32 s22, s4, s20
	s_addc_u32 s23, s5, s21
	global_load_ubyte v2, v26, s[22:23]
	s_add_u32 s20, s20, 1
	s_addc_u32 s21, s21, 0
	s_waitcnt vmcnt(0)
	v_and_b32_e32 v25, 0xffff, v2
	v_lshlrev_b64 v[2:3], s18, v[25:26]
	s_add_u32 s18, s18, 8
	s_addc_u32 s19, s19, 0
	v_or_b32_e32 v14, v2, v14
	s_cmp_lg_u32 s15, s20
	v_or_b32_e32 v15, v3, v15
	s_cbranch_scc1 .LBB4_1500
	s_branch .LBB4_1503
.LBB4_1501:                             ;   in Loop: Header=BB4_1474 Depth=1
                                        ; implicit-def: $vgpr14_vgpr15
                                        ; implicit-def: $sgpr22
	s_branch .LBB4_1504
.LBB4_1502:                             ;   in Loop: Header=BB4_1474 Depth=1
	v_mov_b32_e32 v14, 0
	v_mov_b32_e32 v15, 0
.LBB4_1503:                             ;   in Loop: Header=BB4_1474 Depth=1
	s_mov_b32 s22, 0
	s_cbranch_execnz .LBB4_1505
.LBB4_1504:                             ;   in Loop: Header=BB4_1474 Depth=1
	global_load_dwordx2 v[14:15], v26, s[4:5]
	s_add_i32 s22, s15, -8
	s_add_u32 s4, s4, 8
	s_addc_u32 s5, s5, 0
.LBB4_1505:                             ;   in Loop: Header=BB4_1474 Depth=1
	s_cmp_gt_u32 s22, 7
	s_cbranch_scc1 .LBB4_1509
; %bb.1506:                             ;   in Loop: Header=BB4_1474 Depth=1
	s_cmp_eq_u32 s22, 0
	s_cbranch_scc1 .LBB4_1510
; %bb.1507:                             ;   in Loop: Header=BB4_1474 Depth=1
	v_mov_b32_e32 v16, 0
	s_mov_b64 s[18:19], 0
	v_mov_b32_e32 v17, 0
	s_mov_b64 s[20:21], 0
.LBB4_1508:                             ;   Parent Loop BB4_1474 Depth=1
                                        ; =>  This Inner Loop Header: Depth=2
	s_add_u32 s24, s4, s20
	s_addc_u32 s25, s5, s21
	global_load_ubyte v2, v26, s[24:25]
	s_add_u32 s20, s20, 1
	s_addc_u32 s21, s21, 0
	s_waitcnt vmcnt(0)
	v_and_b32_e32 v25, 0xffff, v2
	v_lshlrev_b64 v[2:3], s18, v[25:26]
	s_add_u32 s18, s18, 8
	s_addc_u32 s19, s19, 0
	v_or_b32_e32 v16, v2, v16
	s_cmp_lg_u32 s22, s20
	v_or_b32_e32 v17, v3, v17
	s_cbranch_scc1 .LBB4_1508
	s_branch .LBB4_1511
.LBB4_1509:                             ;   in Loop: Header=BB4_1474 Depth=1
                                        ; implicit-def: $sgpr15
	s_branch .LBB4_1512
.LBB4_1510:                             ;   in Loop: Header=BB4_1474 Depth=1
	v_mov_b32_e32 v16, 0
	v_mov_b32_e32 v17, 0
.LBB4_1511:                             ;   in Loop: Header=BB4_1474 Depth=1
	s_mov_b32 s15, 0
	s_cbranch_execnz .LBB4_1513
.LBB4_1512:                             ;   in Loop: Header=BB4_1474 Depth=1
	global_load_dwordx2 v[16:17], v26, s[4:5]
	s_add_i32 s15, s22, -8
	s_add_u32 s4, s4, 8
	s_addc_u32 s5, s5, 0
.LBB4_1513:                             ;   in Loop: Header=BB4_1474 Depth=1
	s_cmp_gt_u32 s15, 7
	s_cbranch_scc1 .LBB4_1517
; %bb.1514:                             ;   in Loop: Header=BB4_1474 Depth=1
	s_cmp_eq_u32 s15, 0
	s_cbranch_scc1 .LBB4_1518
; %bb.1515:                             ;   in Loop: Header=BB4_1474 Depth=1
	v_mov_b32_e32 v18, 0
	s_mov_b64 s[18:19], 0
	v_mov_b32_e32 v19, 0
	s_mov_b64 s[20:21], 0
.LBB4_1516:                             ;   Parent Loop BB4_1474 Depth=1
                                        ; =>  This Inner Loop Header: Depth=2
	s_add_u32 s22, s4, s20
	s_addc_u32 s23, s5, s21
	global_load_ubyte v2, v26, s[22:23]
	s_add_u32 s20, s20, 1
	s_addc_u32 s21, s21, 0
	s_waitcnt vmcnt(0)
	v_and_b32_e32 v25, 0xffff, v2
	v_lshlrev_b64 v[2:3], s18, v[25:26]
	s_add_u32 s18, s18, 8
	s_addc_u32 s19, s19, 0
	v_or_b32_e32 v18, v2, v18
	s_cmp_lg_u32 s15, s20
	v_or_b32_e32 v19, v3, v19
	s_cbranch_scc1 .LBB4_1516
	s_branch .LBB4_1519
.LBB4_1517:                             ;   in Loop: Header=BB4_1474 Depth=1
                                        ; implicit-def: $vgpr18_vgpr19
                                        ; implicit-def: $sgpr22
	s_branch .LBB4_1520
.LBB4_1518:                             ;   in Loop: Header=BB4_1474 Depth=1
	v_mov_b32_e32 v18, 0
	v_mov_b32_e32 v19, 0
.LBB4_1519:                             ;   in Loop: Header=BB4_1474 Depth=1
	s_mov_b32 s22, 0
	s_cbranch_execnz .LBB4_1521
.LBB4_1520:                             ;   in Loop: Header=BB4_1474 Depth=1
	global_load_dwordx2 v[18:19], v26, s[4:5]
	s_add_i32 s22, s15, -8
	s_add_u32 s4, s4, 8
	s_addc_u32 s5, s5, 0
.LBB4_1521:                             ;   in Loop: Header=BB4_1474 Depth=1
	s_cmp_gt_u32 s22, 7
	s_cbranch_scc1 .LBB4_1525
; %bb.1522:                             ;   in Loop: Header=BB4_1474 Depth=1
	s_cmp_eq_u32 s22, 0
	s_cbranch_scc1 .LBB4_1526
; %bb.1523:                             ;   in Loop: Header=BB4_1474 Depth=1
	v_mov_b32_e32 v20, 0
	s_mov_b64 s[18:19], 0
	v_mov_b32_e32 v21, 0
	s_mov_b64 s[20:21], s[4:5]
.LBB4_1524:                             ;   Parent Loop BB4_1474 Depth=1
                                        ; =>  This Inner Loop Header: Depth=2
	global_load_ubyte v2, v26, s[20:21]
	s_add_i32 s22, s22, -1
	s_waitcnt vmcnt(0)
	v_and_b32_e32 v25, 0xffff, v2
	v_lshlrev_b64 v[2:3], s18, v[25:26]
	s_add_u32 s18, s18, 8
	s_addc_u32 s19, s19, 0
	s_add_u32 s20, s20, 1
	s_addc_u32 s21, s21, 0
	v_or_b32_e32 v20, v2, v20
	s_cmp_lg_u32 s22, 0
	v_or_b32_e32 v21, v3, v21
	s_cbranch_scc1 .LBB4_1524
	s_branch .LBB4_1527
.LBB4_1525:                             ;   in Loop: Header=BB4_1474 Depth=1
	s_branch .LBB4_1528
.LBB4_1526:                             ;   in Loop: Header=BB4_1474 Depth=1
	v_mov_b32_e32 v20, 0
	v_mov_b32_e32 v21, 0
.LBB4_1527:                             ;   in Loop: Header=BB4_1474 Depth=1
	s_cbranch_execnz .LBB4_1529
.LBB4_1528:                             ;   in Loop: Header=BB4_1474 Depth=1
	global_load_dwordx2 v[20:21], v26, s[4:5]
.LBB4_1529:                             ;   in Loop: Header=BB4_1474 Depth=1
	v_readfirstlane_b32 s4, v50
	v_mov_b32_e32 v2, 0
	v_mov_b32_e32 v3, 0
	v_cmp_eq_u32_e64 s[4:5], s4, v50
	s_and_saveexec_b64 s[18:19], s[4:5]
	s_cbranch_execz .LBB4_1535
; %bb.1530:                             ;   in Loop: Header=BB4_1474 Depth=1
	global_load_dwordx2 v[24:25], v26, s[36:37] offset:24 glc
	s_waitcnt vmcnt(0)
	buffer_wbinvl1_vol
	global_load_dwordx2 v[2:3], v26, s[36:37] offset:40
	global_load_dwordx2 v[22:23], v26, s[36:37]
	s_waitcnt vmcnt(1)
	v_and_b32_e32 v2, v2, v24
	v_and_b32_e32 v3, v3, v25
	v_mul_lo_u32 v3, v3, 24
	v_mul_hi_u32 v27, v2, 24
	v_mul_lo_u32 v2, v2, 24
	v_add_u32_e32 v3, v27, v3
	s_waitcnt vmcnt(0)
	v_add_co_u32_e32 v2, vcc, v22, v2
	v_addc_co_u32_e32 v3, vcc, v23, v3, vcc
	global_load_dwordx2 v[22:23], v[2:3], off glc
	s_waitcnt vmcnt(0)
	global_atomic_cmpswap_x2 v[2:3], v26, v[22:25], s[36:37] offset:24 glc
	s_waitcnt vmcnt(0)
	buffer_wbinvl1_vol
	v_cmp_ne_u64_e32 vcc, v[2:3], v[24:25]
	s_and_saveexec_b64 s[20:21], vcc
	s_cbranch_execz .LBB4_1534
; %bb.1531:                             ;   in Loop: Header=BB4_1474 Depth=1
	s_mov_b64 s[22:23], 0
.LBB4_1532:                             ;   Parent Loop BB4_1474 Depth=1
                                        ; =>  This Inner Loop Header: Depth=2
	s_sleep 1
	global_load_dwordx2 v[22:23], v26, s[36:37] offset:40
	global_load_dwordx2 v[27:28], v26, s[36:37]
	v_mov_b32_e32 v25, v3
	v_mov_b32_e32 v24, v2
	s_waitcnt vmcnt(1)
	v_and_b32_e32 v2, v22, v24
	s_waitcnt vmcnt(0)
	v_mad_u64_u32 v[2:3], s[24:25], v2, 24, v[27:28]
	v_and_b32_e32 v22, v23, v25
	v_mad_u64_u32 v[22:23], s[24:25], v22, 24, v[3:4]
	v_mov_b32_e32 v3, v22
	global_load_dwordx2 v[22:23], v[2:3], off glc
	s_waitcnt vmcnt(0)
	global_atomic_cmpswap_x2 v[2:3], v26, v[22:25], s[36:37] offset:24 glc
	s_waitcnt vmcnt(0)
	buffer_wbinvl1_vol
	v_cmp_eq_u64_e32 vcc, v[2:3], v[24:25]
	s_or_b64 s[22:23], vcc, s[22:23]
	s_andn2_b64 exec, exec, s[22:23]
	s_cbranch_execnz .LBB4_1532
; %bb.1533:                             ;   in Loop: Header=BB4_1474 Depth=1
	s_or_b64 exec, exec, s[22:23]
.LBB4_1534:                             ;   in Loop: Header=BB4_1474 Depth=1
	s_or_b64 exec, exec, s[20:21]
.LBB4_1535:                             ;   in Loop: Header=BB4_1474 Depth=1
	s_or_b64 exec, exec, s[18:19]
	global_load_dwordx2 v[27:28], v26, s[36:37] offset:40
	global_load_dwordx4 v[22:25], v26, s[36:37]
	v_readfirstlane_b32 s18, v2
	v_readfirstlane_b32 s19, v3
	s_mov_b64 s[20:21], exec
	s_waitcnt vmcnt(1)
	v_readfirstlane_b32 s22, v27
	v_readfirstlane_b32 s23, v28
	s_and_b64 s[22:23], s[18:19], s[22:23]
	s_mul_i32 s15, s23, 24
	s_mul_hi_u32 s24, s22, 24
	s_mul_i32 s25, s22, 24
	s_add_i32 s15, s24, s15
	v_mov_b32_e32 v2, s15
	s_waitcnt vmcnt(0)
	v_add_co_u32_e32 v27, vcc, s25, v22
	v_addc_co_u32_e32 v28, vcc, v23, v2, vcc
	s_and_saveexec_b64 s[24:25], s[4:5]
	s_cbranch_execz .LBB4_1537
; %bb.1536:                             ;   in Loop: Header=BB4_1474 Depth=1
	v_mov_b32_e32 v2, s20
	v_mov_b32_e32 v3, s21
	global_store_dwordx4 v[27:28], v[2:5], off offset:8
.LBB4_1537:                             ;   in Loop: Header=BB4_1474 Depth=1
	s_or_b64 exec, exec, s[24:25]
	s_lshl_b64 s[20:21], s[22:23], 12
	v_mov_b32_e32 v2, s21
	v_add_co_u32_e32 v24, vcc, s20, v24
	v_addc_co_u32_e32 v29, vcc, v25, v2, vcc
	v_cmp_gt_u64_e64 vcc, s[10:11], 56
	v_or_b32_e32 v2, 2, v6
	s_lshl_b32 s15, s16, 2
	v_cndmask_b32_e32 v2, v2, v6, vcc
	s_add_i32 s15, s15, 28
	s_and_b32 s15, s15, 0x1e0
	v_and_b32_e32 v2, 0xffffff1f, v2
	v_or_b32_e32 v6, s15, v2
	v_readfirstlane_b32 s20, v24
	v_readfirstlane_b32 s21, v29
	s_nop 4
	global_store_dwordx4 v39, v[6:9], s[20:21]
	global_store_dwordx4 v39, v[10:13], s[20:21] offset:16
	global_store_dwordx4 v39, v[14:17], s[20:21] offset:32
	global_store_dwordx4 v39, v[18:21], s[20:21] offset:48
	s_and_saveexec_b64 s[20:21], s[4:5]
	s_cbranch_execz .LBB4_1545
; %bb.1538:                             ;   in Loop: Header=BB4_1474 Depth=1
	global_load_dwordx2 v[10:11], v26, s[36:37] offset:32 glc
	global_load_dwordx2 v[2:3], v26, s[36:37] offset:40
	v_mov_b32_e32 v8, s18
	v_mov_b32_e32 v9, s19
	s_waitcnt vmcnt(0)
	v_readfirstlane_b32 s22, v2
	v_readfirstlane_b32 s23, v3
	s_and_b64 s[22:23], s[22:23], s[18:19]
	s_mul_i32 s15, s23, 24
	s_mul_hi_u32 s23, s22, 24
	s_mul_i32 s22, s22, 24
	s_add_i32 s15, s23, s15
	v_mov_b32_e32 v3, s15
	v_add_co_u32_e32 v2, vcc, s22, v22
	v_addc_co_u32_e32 v3, vcc, v23, v3, vcc
	global_store_dwordx2 v[2:3], v[10:11], off
	s_waitcnt vmcnt(0)
	global_atomic_cmpswap_x2 v[8:9], v26, v[8:11], s[36:37] offset:32 glc
	s_waitcnt vmcnt(0)
	v_cmp_ne_u64_e32 vcc, v[8:9], v[10:11]
	s_and_saveexec_b64 s[22:23], vcc
	s_cbranch_execz .LBB4_1541
; %bb.1539:                             ;   in Loop: Header=BB4_1474 Depth=1
	s_mov_b64 s[24:25], 0
.LBB4_1540:                             ;   Parent Loop BB4_1474 Depth=1
                                        ; =>  This Inner Loop Header: Depth=2
	s_sleep 1
	global_store_dwordx2 v[2:3], v[8:9], off
	v_mov_b32_e32 v6, s18
	v_mov_b32_e32 v7, s19
	s_waitcnt vmcnt(0)
	global_atomic_cmpswap_x2 v[6:7], v26, v[6:9], s[36:37] offset:32 glc
	s_waitcnt vmcnt(0)
	v_cmp_eq_u64_e32 vcc, v[6:7], v[8:9]
	v_mov_b32_e32 v9, v7
	s_or_b64 s[24:25], vcc, s[24:25]
	v_mov_b32_e32 v8, v6
	s_andn2_b64 exec, exec, s[24:25]
	s_cbranch_execnz .LBB4_1540
.LBB4_1541:                             ;   in Loop: Header=BB4_1474 Depth=1
	s_or_b64 exec, exec, s[22:23]
	global_load_dwordx2 v[2:3], v26, s[36:37] offset:16
	s_mov_b64 s[24:25], exec
	v_mbcnt_lo_u32_b32 v6, s24, 0
	v_mbcnt_hi_u32_b32 v6, s25, v6
	v_cmp_eq_u32_e32 vcc, 0, v6
	s_and_saveexec_b64 s[22:23], vcc
	s_cbranch_execz .LBB4_1543
; %bb.1542:                             ;   in Loop: Header=BB4_1474 Depth=1
	s_bcnt1_i32_b64 s15, s[24:25]
	v_mov_b32_e32 v25, s15
	s_waitcnt vmcnt(0)
	global_atomic_add_x2 v[2:3], v[25:26], off offset:8
.LBB4_1543:                             ;   in Loop: Header=BB4_1474 Depth=1
	s_or_b64 exec, exec, s[22:23]
	s_waitcnt vmcnt(0)
	global_load_dwordx2 v[6:7], v[2:3], off offset:16
	s_waitcnt vmcnt(0)
	v_cmp_eq_u64_e32 vcc, 0, v[6:7]
	s_cbranch_vccnz .LBB4_1545
; %bb.1544:                             ;   in Loop: Header=BB4_1474 Depth=1
	global_load_dword v25, v[2:3], off offset:24
	s_waitcnt vmcnt(0)
	v_and_b32_e32 v2, 0xffffff, v25
	v_readfirstlane_b32 m0, v2
	global_store_dwordx2 v[6:7], v[25:26], off
	s_sendmsg sendmsg(MSG_INTERRUPT)
.LBB4_1545:                             ;   in Loop: Header=BB4_1474 Depth=1
	s_or_b64 exec, exec, s[20:21]
	v_add_co_u32_e32 v2, vcc, v24, v39
	v_addc_co_u32_e32 v3, vcc, 0, v29, vcc
	s_branch .LBB4_1549
.LBB4_1546:                             ;   in Loop: Header=BB4_1549 Depth=2
	s_or_b64 exec, exec, s[20:21]
	v_readfirstlane_b32 s15, v6
	s_cmp_eq_u32 s15, 0
	s_cbranch_scc1 .LBB4_1548
; %bb.1547:                             ;   in Loop: Header=BB4_1549 Depth=2
	s_sleep 1
	s_cbranch_execnz .LBB4_1549
	s_branch .LBB4_1551
.LBB4_1548:                             ;   in Loop: Header=BB4_1474 Depth=1
	s_branch .LBB4_1551
.LBB4_1549:                             ;   Parent Loop BB4_1474 Depth=1
                                        ; =>  This Inner Loop Header: Depth=2
	v_mov_b32_e32 v6, 1
	s_and_saveexec_b64 s[20:21], s[4:5]
	s_cbranch_execz .LBB4_1546
; %bb.1550:                             ;   in Loop: Header=BB4_1549 Depth=2
	global_load_dword v6, v[27:28], off offset:20 glc
	s_waitcnt vmcnt(0)
	buffer_wbinvl1_vol
	v_and_b32_e32 v6, 1, v6
	s_branch .LBB4_1546
.LBB4_1551:                             ;   in Loop: Header=BB4_1474 Depth=1
	global_load_dwordx4 v[6:9], v[2:3], off
	s_and_saveexec_b64 s[20:21], s[4:5]
	s_cbranch_execz .LBB4_1473
; %bb.1552:                             ;   in Loop: Header=BB4_1474 Depth=1
	global_load_dwordx2 v[2:3], v26, s[36:37] offset:40
	global_load_dwordx2 v[12:13], v26, s[36:37] offset:24 glc
	global_load_dwordx2 v[14:15], v26, s[36:37]
	s_waitcnt vmcnt(3)
	v_mov_b32_e32 v9, s19
	s_waitcnt vmcnt(2)
	v_add_co_u32_e32 v10, vcc, 1, v2
	v_addc_co_u32_e32 v11, vcc, 0, v3, vcc
	v_add_co_u32_e32 v8, vcc, s18, v10
	v_addc_co_u32_e32 v9, vcc, v11, v9, vcc
	v_cmp_eq_u64_e32 vcc, 0, v[8:9]
	v_cndmask_b32_e32 v9, v9, v11, vcc
	v_cndmask_b32_e32 v8, v8, v10, vcc
	v_and_b32_e32 v3, v9, v3
	v_and_b32_e32 v2, v8, v2
	v_mul_lo_u32 v3, v3, 24
	v_mul_hi_u32 v11, v2, 24
	v_mul_lo_u32 v2, v2, 24
	s_waitcnt vmcnt(1)
	v_mov_b32_e32 v10, v12
	v_add_u32_e32 v3, v11, v3
	s_waitcnt vmcnt(0)
	v_add_co_u32_e32 v2, vcc, v14, v2
	v_addc_co_u32_e32 v3, vcc, v15, v3, vcc
	global_store_dwordx2 v[2:3], v[12:13], off
	v_mov_b32_e32 v11, v13
	s_waitcnt vmcnt(0)
	global_atomic_cmpswap_x2 v[10:11], v26, v[8:11], s[36:37] offset:24 glc
	s_waitcnt vmcnt(0)
	v_cmp_ne_u64_e32 vcc, v[10:11], v[12:13]
	s_and_b64 exec, exec, vcc
	s_cbranch_execz .LBB4_1473
; %bb.1553:                             ;   in Loop: Header=BB4_1474 Depth=1
	s_mov_b64 s[4:5], 0
.LBB4_1554:                             ;   Parent Loop BB4_1474 Depth=1
                                        ; =>  This Inner Loop Header: Depth=2
	s_sleep 1
	global_store_dwordx2 v[2:3], v[10:11], off
	s_waitcnt vmcnt(0)
	global_atomic_cmpswap_x2 v[12:13], v26, v[8:11], s[36:37] offset:24 glc
	s_waitcnt vmcnt(0)
	v_cmp_eq_u64_e32 vcc, v[12:13], v[10:11]
	v_mov_b32_e32 v10, v12
	s_or_b64 s[4:5], vcc, s[4:5]
	v_mov_b32_e32 v11, v13
	s_andn2_b64 exec, exec, s[4:5]
	s_cbranch_execnz .LBB4_1554
	s_branch .LBB4_1473
.LBB4_1555:
	s_mov_b64 s[4:5], 0
	s_branch .LBB4_1557
.LBB4_1556:
	s_mov_b64 s[4:5], -1
.LBB4_1557:
	s_mov_b32 s38, s12
	s_mov_b32 s42, s13
	;; [unrolled: 1-line block ×3, first 2 shown]
	s_and_b64 vcc, exec, s[4:5]
	s_cbranch_vccz .LBB4_1584
; %bb.1558:
	v_readfirstlane_b32 s4, v50
	s_waitcnt vmcnt(0)
	v_mov_b32_e32 v8, 0
	v_mov_b32_e32 v9, 0
	v_cmp_eq_u32_e64 s[4:5], s4, v50
	s_and_saveexec_b64 s[6:7], s[4:5]
	s_cbranch_execz .LBB4_1564
; %bb.1559:
	v_mov_b32_e32 v2, 0
	global_load_dwordx2 v[5:6], v2, s[36:37] offset:24 glc
	s_waitcnt vmcnt(0)
	buffer_wbinvl1_vol
	global_load_dwordx2 v[3:4], v2, s[36:37] offset:40
	global_load_dwordx2 v[7:8], v2, s[36:37]
	s_waitcnt vmcnt(1)
	v_and_b32_e32 v3, v3, v5
	v_and_b32_e32 v4, v4, v6
	v_mul_lo_u32 v4, v4, 24
	v_mul_hi_u32 v9, v3, 24
	v_mul_lo_u32 v3, v3, 24
	v_add_u32_e32 v4, v9, v4
	s_waitcnt vmcnt(0)
	v_add_co_u32_e32 v3, vcc, v7, v3
	v_addc_co_u32_e32 v4, vcc, v8, v4, vcc
	global_load_dwordx2 v[3:4], v[3:4], off glc
	s_waitcnt vmcnt(0)
	global_atomic_cmpswap_x2 v[8:9], v2, v[3:6], s[36:37] offset:24 glc
	s_waitcnt vmcnt(0)
	buffer_wbinvl1_vol
	v_cmp_ne_u64_e32 vcc, v[8:9], v[5:6]
	s_and_saveexec_b64 s[10:11], vcc
	s_cbranch_execz .LBB4_1563
; %bb.1560:
	s_mov_b64 s[12:13], 0
.LBB4_1561:                             ; =>This Inner Loop Header: Depth=1
	s_sleep 1
	global_load_dwordx2 v[3:4], v2, s[36:37] offset:40
	global_load_dwordx2 v[10:11], v2, s[36:37]
	v_mov_b32_e32 v5, v8
	v_mov_b32_e32 v6, v9
	s_waitcnt vmcnt(1)
	v_and_b32_e32 v3, v3, v5
	s_waitcnt vmcnt(0)
	v_mad_u64_u32 v[7:8], s[14:15], v3, 24, v[10:11]
	v_and_b32_e32 v4, v4, v6
	v_mov_b32_e32 v3, v8
	v_mad_u64_u32 v[3:4], s[14:15], v4, 24, v[3:4]
	v_mov_b32_e32 v8, v3
	global_load_dwordx2 v[3:4], v[7:8], off glc
	s_waitcnt vmcnt(0)
	global_atomic_cmpswap_x2 v[8:9], v2, v[3:6], s[36:37] offset:24 glc
	s_waitcnt vmcnt(0)
	buffer_wbinvl1_vol
	v_cmp_eq_u64_e32 vcc, v[8:9], v[5:6]
	s_or_b64 s[12:13], vcc, s[12:13]
	s_andn2_b64 exec, exec, s[12:13]
	s_cbranch_execnz .LBB4_1561
; %bb.1562:
	s_or_b64 exec, exec, s[12:13]
.LBB4_1563:
	s_or_b64 exec, exec, s[10:11]
.LBB4_1564:
	s_or_b64 exec, exec, s[6:7]
	v_mov_b32_e32 v2, 0
	global_load_dwordx2 v[10:11], v2, s[36:37] offset:40
	global_load_dwordx4 v[4:7], v2, s[36:37]
	v_readfirstlane_b32 s6, v8
	v_readfirstlane_b32 s7, v9
	s_mov_b64 s[10:11], exec
	s_waitcnt vmcnt(1)
	v_readfirstlane_b32 s12, v10
	v_readfirstlane_b32 s13, v11
	s_and_b64 s[12:13], s[6:7], s[12:13]
	s_mul_i32 s14, s13, 24
	s_mul_hi_u32 s15, s12, 24
	s_mul_i32 s16, s12, 24
	s_add_i32 s14, s15, s14
	v_mov_b32_e32 v3, s14
	s_waitcnt vmcnt(0)
	v_add_co_u32_e32 v8, vcc, s16, v4
	v_addc_co_u32_e32 v9, vcc, v5, v3, vcc
	s_and_saveexec_b64 s[14:15], s[4:5]
	s_cbranch_execz .LBB4_1566
; %bb.1565:
	v_mov_b32_e32 v10, s10
	v_mov_b32_e32 v11, s11
	;; [unrolled: 1-line block ×4, first 2 shown]
	global_store_dwordx4 v[8:9], v[10:13], off offset:8
.LBB4_1566:
	s_or_b64 exec, exec, s[14:15]
	s_lshl_b64 s[10:11], s[12:13], 12
	v_mov_b32_e32 v3, s11
	v_add_co_u32_e32 v6, vcc, s10, v6
	v_addc_co_u32_e32 v7, vcc, v7, v3, vcc
	s_movk_i32 s10, 0xff1d
	v_and_or_b32 v0, v0, s10, 34
	s_mov_b32 s12, 0
	v_mov_b32_e32 v3, v2
	v_readfirstlane_b32 s10, v6
	v_readfirstlane_b32 s11, v7
	s_mov_b32 s13, s12
	s_mov_b32 s14, s12
	;; [unrolled: 1-line block ×3, first 2 shown]
	s_nop 1
	global_store_dwordx4 v39, v[0:3], s[10:11]
	s_nop 0
	v_mov_b32_e32 v0, s12
	v_mov_b32_e32 v1, s13
	;; [unrolled: 1-line block ×4, first 2 shown]
	global_store_dwordx4 v39, v[0:3], s[10:11] offset:16
	global_store_dwordx4 v39, v[0:3], s[10:11] offset:32
	;; [unrolled: 1-line block ×3, first 2 shown]
	s_and_saveexec_b64 s[10:11], s[4:5]
	s_cbranch_execz .LBB4_1574
; %bb.1567:
	v_mov_b32_e32 v6, 0
	global_load_dwordx2 v[12:13], v6, s[36:37] offset:32 glc
	global_load_dwordx2 v[0:1], v6, s[36:37] offset:40
	v_mov_b32_e32 v10, s6
	v_mov_b32_e32 v11, s7
	s_waitcnt vmcnt(0)
	v_readfirstlane_b32 s12, v0
	v_readfirstlane_b32 s13, v1
	s_and_b64 s[12:13], s[12:13], s[6:7]
	s_mul_i32 s13, s13, 24
	s_mul_hi_u32 s14, s12, 24
	s_mul_i32 s12, s12, 24
	s_add_i32 s13, s14, s13
	v_mov_b32_e32 v0, s13
	v_add_co_u32_e32 v4, vcc, s12, v4
	v_addc_co_u32_e32 v5, vcc, v5, v0, vcc
	global_store_dwordx2 v[4:5], v[12:13], off
	s_waitcnt vmcnt(0)
	global_atomic_cmpswap_x2 v[2:3], v6, v[10:13], s[36:37] offset:32 glc
	s_waitcnt vmcnt(0)
	v_cmp_ne_u64_e32 vcc, v[2:3], v[12:13]
	s_and_saveexec_b64 s[12:13], vcc
	s_cbranch_execz .LBB4_1570
; %bb.1568:
	s_mov_b64 s[14:15], 0
.LBB4_1569:                             ; =>This Inner Loop Header: Depth=1
	s_sleep 1
	global_store_dwordx2 v[4:5], v[2:3], off
	v_mov_b32_e32 v0, s6
	v_mov_b32_e32 v1, s7
	s_waitcnt vmcnt(0)
	global_atomic_cmpswap_x2 v[0:1], v6, v[0:3], s[36:37] offset:32 glc
	s_waitcnt vmcnt(0)
	v_cmp_eq_u64_e32 vcc, v[0:1], v[2:3]
	v_mov_b32_e32 v3, v1
	s_or_b64 s[14:15], vcc, s[14:15]
	v_mov_b32_e32 v2, v0
	s_andn2_b64 exec, exec, s[14:15]
	s_cbranch_execnz .LBB4_1569
.LBB4_1570:
	s_or_b64 exec, exec, s[12:13]
	v_mov_b32_e32 v3, 0
	global_load_dwordx2 v[0:1], v3, s[36:37] offset:16
	s_mov_b64 s[12:13], exec
	v_mbcnt_lo_u32_b32 v2, s12, 0
	v_mbcnt_hi_u32_b32 v2, s13, v2
	v_cmp_eq_u32_e32 vcc, 0, v2
	s_and_saveexec_b64 s[14:15], vcc
	s_cbranch_execz .LBB4_1572
; %bb.1571:
	s_bcnt1_i32_b64 s12, s[12:13]
	v_mov_b32_e32 v2, s12
	s_waitcnt vmcnt(0)
	global_atomic_add_x2 v[0:1], v[2:3], off offset:8
.LBB4_1572:
	s_or_b64 exec, exec, s[14:15]
	s_waitcnt vmcnt(0)
	global_load_dwordx2 v[2:3], v[0:1], off offset:16
	s_waitcnt vmcnt(0)
	v_cmp_eq_u64_e32 vcc, 0, v[2:3]
	s_cbranch_vccnz .LBB4_1574
; %bb.1573:
	global_load_dword v0, v[0:1], off offset:24
	v_mov_b32_e32 v1, 0
	s_waitcnt vmcnt(0)
	global_store_dwordx2 v[2:3], v[0:1], off
	v_and_b32_e32 v0, 0xffffff, v0
	v_readfirstlane_b32 m0, v0
	s_sendmsg sendmsg(MSG_INTERRUPT)
.LBB4_1574:
	s_or_b64 exec, exec, s[10:11]
	s_branch .LBB4_1578
.LBB4_1575:                             ;   in Loop: Header=BB4_1578 Depth=1
	s_or_b64 exec, exec, s[10:11]
	v_readfirstlane_b32 s10, v0
	s_cmp_eq_u32 s10, 0
	s_cbranch_scc1 .LBB4_1577
; %bb.1576:                             ;   in Loop: Header=BB4_1578 Depth=1
	s_sleep 1
	s_cbranch_execnz .LBB4_1578
	s_branch .LBB4_1580
.LBB4_1577:
	s_branch .LBB4_1580
.LBB4_1578:                             ; =>This Inner Loop Header: Depth=1
	v_mov_b32_e32 v0, 1
	s_and_saveexec_b64 s[10:11], s[4:5]
	s_cbranch_execz .LBB4_1575
; %bb.1579:                             ;   in Loop: Header=BB4_1578 Depth=1
	global_load_dword v0, v[8:9], off offset:20 glc
	s_waitcnt vmcnt(0)
	buffer_wbinvl1_vol
	v_and_b32_e32 v0, 1, v0
	s_branch .LBB4_1575
.LBB4_1580:
	s_and_saveexec_b64 s[10:11], s[4:5]
	s_cbranch_execz .LBB4_1583
; %bb.1581:
	v_mov_b32_e32 v6, 0
	global_load_dwordx2 v[2:3], v6, s[36:37] offset:40
	global_load_dwordx2 v[7:8], v6, s[36:37] offset:24 glc
	global_load_dwordx2 v[4:5], v6, s[36:37]
	v_mov_b32_e32 v1, s7
	s_mov_b64 s[4:5], 0
	s_waitcnt vmcnt(2)
	v_add_co_u32_e32 v9, vcc, 1, v2
	v_addc_co_u32_e32 v10, vcc, 0, v3, vcc
	v_add_co_u32_e32 v0, vcc, s6, v9
	v_addc_co_u32_e32 v1, vcc, v10, v1, vcc
	v_cmp_eq_u64_e32 vcc, 0, v[0:1]
	v_cndmask_b32_e32 v1, v1, v10, vcc
	v_cndmask_b32_e32 v0, v0, v9, vcc
	v_and_b32_e32 v3, v1, v3
	v_and_b32_e32 v2, v0, v2
	v_mul_lo_u32 v3, v3, 24
	v_mul_hi_u32 v9, v2, 24
	v_mul_lo_u32 v10, v2, 24
	s_waitcnt vmcnt(1)
	v_mov_b32_e32 v2, v7
	v_add_u32_e32 v3, v9, v3
	s_waitcnt vmcnt(0)
	v_add_co_u32_e32 v4, vcc, v4, v10
	v_addc_co_u32_e32 v5, vcc, v5, v3, vcc
	global_store_dwordx2 v[4:5], v[7:8], off
	v_mov_b32_e32 v3, v8
	s_waitcnt vmcnt(0)
	global_atomic_cmpswap_x2 v[2:3], v6, v[0:3], s[36:37] offset:24 glc
	s_waitcnt vmcnt(0)
	v_cmp_ne_u64_e32 vcc, v[2:3], v[7:8]
	s_and_b64 exec, exec, vcc
	s_cbranch_execz .LBB4_1583
.LBB4_1582:                             ; =>This Inner Loop Header: Depth=1
	s_sleep 1
	global_store_dwordx2 v[4:5], v[2:3], off
	s_waitcnt vmcnt(0)
	global_atomic_cmpswap_x2 v[7:8], v6, v[0:3], s[36:37] offset:24 glc
	s_waitcnt vmcnt(0)
	v_cmp_eq_u64_e32 vcc, v[7:8], v[2:3]
	v_mov_b32_e32 v2, v7
	s_or_b64 s[4:5], vcc, s[4:5]
	v_mov_b32_e32 v3, v8
	s_andn2_b64 exec, exec, s[4:5]
	s_cbranch_execnz .LBB4_1582
.LBB4_1583:
	s_or_b64 exec, exec, s[10:11]
.LBB4_1584:
	s_getpc_b64 s[4:5]
	s_add_u32 s4, s4, .str.16@rel32@lo+4
	s_addc_u32 s5, s5, .str.16@rel32@hi+12
	s_waitcnt vmcnt(0)
	v_mov_b32_e32 v0, s4
	v_mov_b32_e32 v1, s5
	s_getpc_b64 s[44:45]
	s_add_u32 s44, s44, _ZNK8migraphx13basic_printerIZNS_4coutEvEUlT_E_ElsEPKc@rel32@lo+4
	s_addc_u32 s45, s45, _ZNK8migraphx13basic_printerIZNS_4coutEvEUlT_E_ElsEPKc@rel32@hi+12
	s_mov_b64 s[26:27], s[8:9]
	s_swappc_b64 s[30:31], s[44:45]
	s_getpc_b64 s[4:5]
	s_add_u32 s4, s4, .str.3@rel32@lo+4
	s_addc_u32 s5, s5, .str.3@rel32@hi+12
	s_mov_b64 s[8:9], s[26:27]
	v_mov_b32_e32 v0, s4
	v_mov_b32_e32 v1, s5
	s_swappc_b64 s[30:31], s[44:45]
	s_mov_b64 s[8:9], s[26:27]
	v_mov_b32_e32 v0, v48
	v_mov_b32_e32 v1, v49
	s_getpc_b64 s[46:47]
	s_add_u32 s46, s46, _ZN8migraphx4test12print_streamIKNS_13basic_printerIZNS_4coutEvEUlT_E_EEPiEEvRS3_RKT0_@rel32@lo+4
	s_addc_u32 s47, s47, _ZN8migraphx4test12print_streamIKNS_13basic_printerIZNS_4coutEvEUlT_E_EEPiEEvRS3_RKT0_@rel32@hi+12
	s_swappc_b64 s[30:31], s[46:47]
	s_getpc_b64 s[24:25]
	s_add_u32 s24, s24, .str.8@rel32@lo+4
	s_addc_u32 s25, s25, .str.8@rel32@hi+12
	s_mov_b64 s[8:9], s[26:27]
	v_mov_b32_e32 v0, s24
	v_mov_b32_e32 v1, s25
	s_swappc_b64 s[30:31], s[44:45]
	s_getpc_b64 s[4:5]
	s_add_u32 s4, s4, .str.10@rel32@lo+4
	s_addc_u32 s5, s5, .str.10@rel32@hi+12
	s_mov_b64 s[8:9], s[26:27]
	v_mov_b32_e32 v0, s4
	v_mov_b32_e32 v1, s5
	s_swappc_b64 s[30:31], s[44:45]
	s_mov_b64 s[8:9], s[26:27]
	v_mov_b32_e32 v0, s24
	v_mov_b32_e32 v1, s25
	s_swappc_b64 s[30:31], s[44:45]
	v_mov_b32_e32 v1, s39
	s_mov_b64 s[8:9], s[26:27]
	v_mov_b32_e32 v0, v38
	s_swappc_b64 s[30:31], s[46:47]
	s_getpc_b64 s[4:5]
	s_add_u32 s4, s4, .str.4@rel32@lo+4
	s_addc_u32 s5, s5, .str.4@rel32@hi+12
	s_mov_b64 s[8:9], s[26:27]
	v_mov_b32_e32 v0, s4
	v_mov_b32_e32 v1, s5
	s_mov_b64 s[24:25], s[26:27]
	s_swappc_b64 s[30:31], s[44:45]
	v_readfirstlane_b32 s4, v50
	v_mov_b32_e32 v5, 0
	v_mov_b32_e32 v6, 0
	v_cmp_eq_u32_e64 s[4:5], s4, v50
	s_and_saveexec_b64 s[6:7], s[4:5]
	s_mov_b32 s14, s43
	s_mov_b32 s13, s42
	;; [unrolled: 1-line block ×3, first 2 shown]
	s_cbranch_execz .LBB4_1590
; %bb.1585:
	v_mov_b32_e32 v0, 0
	global_load_dwordx2 v[3:4], v0, s[36:37] offset:24 glc
	s_waitcnt vmcnt(0)
	buffer_wbinvl1_vol
	global_load_dwordx2 v[1:2], v0, s[36:37] offset:40
	global_load_dwordx2 v[5:6], v0, s[36:37]
	s_waitcnt vmcnt(1)
	v_and_b32_e32 v1, v1, v3
	v_and_b32_e32 v2, v2, v4
	v_mul_lo_u32 v2, v2, 24
	v_mul_hi_u32 v7, v1, 24
	v_mul_lo_u32 v1, v1, 24
	v_add_u32_e32 v2, v7, v2
	s_waitcnt vmcnt(0)
	v_add_co_u32_e32 v1, vcc, v5, v1
	v_addc_co_u32_e32 v2, vcc, v6, v2, vcc
	global_load_dwordx2 v[1:2], v[1:2], off glc
	s_waitcnt vmcnt(0)
	global_atomic_cmpswap_x2 v[5:6], v0, v[1:4], s[36:37] offset:24 glc
	s_waitcnt vmcnt(0)
	buffer_wbinvl1_vol
	v_cmp_ne_u64_e32 vcc, v[5:6], v[3:4]
	s_and_saveexec_b64 s[8:9], vcc
	s_cbranch_execz .LBB4_1589
; %bb.1586:
	s_mov_b64 s[10:11], 0
.LBB4_1587:                             ; =>This Inner Loop Header: Depth=1
	s_sleep 1
	global_load_dwordx2 v[1:2], v0, s[36:37] offset:40
	global_load_dwordx2 v[7:8], v0, s[36:37]
	v_mov_b32_e32 v3, v5
	v_mov_b32_e32 v4, v6
	s_waitcnt vmcnt(1)
	v_and_b32_e32 v1, v1, v3
	s_waitcnt vmcnt(0)
	v_mad_u64_u32 v[5:6], s[16:17], v1, 24, v[7:8]
	v_and_b32_e32 v2, v2, v4
	v_mov_b32_e32 v1, v6
	v_mad_u64_u32 v[1:2], s[16:17], v2, 24, v[1:2]
	v_mov_b32_e32 v6, v1
	global_load_dwordx2 v[1:2], v[5:6], off glc
	s_waitcnt vmcnt(0)
	global_atomic_cmpswap_x2 v[5:6], v0, v[1:4], s[36:37] offset:24 glc
	s_waitcnt vmcnt(0)
	buffer_wbinvl1_vol
	v_cmp_eq_u64_e32 vcc, v[5:6], v[3:4]
	s_or_b64 s[10:11], vcc, s[10:11]
	s_andn2_b64 exec, exec, s[10:11]
	s_cbranch_execnz .LBB4_1587
; %bb.1588:
	s_or_b64 exec, exec, s[10:11]
.LBB4_1589:
	s_or_b64 exec, exec, s[8:9]
.LBB4_1590:
	s_or_b64 exec, exec, s[6:7]
	v_mov_b32_e32 v4, 0
	global_load_dwordx2 v[7:8], v4, s[36:37] offset:40
	global_load_dwordx4 v[0:3], v4, s[36:37]
	v_readfirstlane_b32 s6, v5
	v_readfirstlane_b32 s7, v6
	s_mov_b64 s[8:9], exec
	s_waitcnt vmcnt(1)
	v_readfirstlane_b32 s10, v7
	v_readfirstlane_b32 s11, v8
	s_and_b64 s[10:11], s[6:7], s[10:11]
	s_mul_i32 s15, s11, 24
	s_mul_hi_u32 s16, s10, 24
	s_mul_i32 s17, s10, 24
	s_add_i32 s15, s16, s15
	v_mov_b32_e32 v5, s15
	s_waitcnt vmcnt(0)
	v_add_co_u32_e32 v7, vcc, s17, v0
	v_addc_co_u32_e32 v8, vcc, v1, v5, vcc
	s_and_saveexec_b64 s[16:17], s[4:5]
	s_cbranch_execz .LBB4_1592
; %bb.1591:
	v_mov_b32_e32 v10, s9
	v_mov_b32_e32 v9, s8
	;; [unrolled: 1-line block ×4, first 2 shown]
	global_store_dwordx4 v[7:8], v[9:12], off offset:8
.LBB4_1592:
	s_or_b64 exec, exec, s[16:17]
	s_lshl_b64 s[8:9], s[10:11], 12
	v_mov_b32_e32 v5, s9
	v_add_co_u32_e32 v2, vcc, s8, v2
	v_addc_co_u32_e32 v11, vcc, v3, v5, vcc
	s_mov_b32 s8, 0
	v_mov_b32_e32 v3, 33
	v_mov_b32_e32 v5, v4
	;; [unrolled: 1-line block ×3, first 2 shown]
	v_readfirstlane_b32 s16, v2
	v_readfirstlane_b32 s17, v11
	v_add_co_u32_e32 v9, vcc, v2, v39
	s_mov_b32 s9, s8
	s_mov_b32 s10, s8
	;; [unrolled: 1-line block ×3, first 2 shown]
	s_nop 0
	global_store_dwordx4 v39, v[3:6], s[16:17]
	v_mov_b32_e32 v2, s8
	v_addc_co_u32_e32 v10, vcc, 0, v11, vcc
	v_mov_b32_e32 v3, s9
	v_mov_b32_e32 v4, s10
	;; [unrolled: 1-line block ×3, first 2 shown]
	global_store_dwordx4 v39, v[2:5], s[16:17] offset:16
	global_store_dwordx4 v39, v[2:5], s[16:17] offset:32
	;; [unrolled: 1-line block ×3, first 2 shown]
	s_and_saveexec_b64 s[10:11], s[4:5]
	s_mov_b64 s[8:9], s[24:25]
	s_cbranch_execz .LBB4_1600
; %bb.1593:
	v_mov_b32_e32 v6, 0
	global_load_dwordx2 v[13:14], v6, s[36:37] offset:32 glc
	global_load_dwordx2 v[2:3], v6, s[36:37] offset:40
	v_mov_b32_e32 v11, s6
	v_mov_b32_e32 v12, s7
	s_waitcnt vmcnt(0)
	v_readfirstlane_b32 s16, v2
	v_readfirstlane_b32 s17, v3
	s_and_b64 s[16:17], s[16:17], s[6:7]
	s_mul_i32 s15, s17, 24
	s_mul_hi_u32 s17, s16, 24
	s_mul_i32 s16, s16, 24
	s_add_i32 s15, s17, s15
	v_mov_b32_e32 v2, s15
	v_add_co_u32_e32 v4, vcc, s16, v0
	v_addc_co_u32_e32 v5, vcc, v1, v2, vcc
	global_store_dwordx2 v[4:5], v[13:14], off
	s_waitcnt vmcnt(0)
	global_atomic_cmpswap_x2 v[2:3], v6, v[11:14], s[36:37] offset:32 glc
	s_waitcnt vmcnt(0)
	v_cmp_ne_u64_e32 vcc, v[2:3], v[13:14]
	s_and_saveexec_b64 s[16:17], vcc
	s_cbranch_execz .LBB4_1596
; %bb.1594:
	s_mov_b64 s[18:19], 0
.LBB4_1595:                             ; =>This Inner Loop Header: Depth=1
	s_sleep 1
	global_store_dwordx2 v[4:5], v[2:3], off
	v_mov_b32_e32 v0, s6
	v_mov_b32_e32 v1, s7
	s_waitcnt vmcnt(0)
	global_atomic_cmpswap_x2 v[0:1], v6, v[0:3], s[36:37] offset:32 glc
	s_waitcnt vmcnt(0)
	v_cmp_eq_u64_e32 vcc, v[0:1], v[2:3]
	v_mov_b32_e32 v3, v1
	s_or_b64 s[18:19], vcc, s[18:19]
	v_mov_b32_e32 v2, v0
	s_andn2_b64 exec, exec, s[18:19]
	s_cbranch_execnz .LBB4_1595
.LBB4_1596:
	s_or_b64 exec, exec, s[16:17]
	v_mov_b32_e32 v3, 0
	global_load_dwordx2 v[0:1], v3, s[36:37] offset:16
	s_mov_b64 s[16:17], exec
	v_mbcnt_lo_u32_b32 v2, s16, 0
	v_mbcnt_hi_u32_b32 v2, s17, v2
	v_cmp_eq_u32_e32 vcc, 0, v2
	s_and_saveexec_b64 s[18:19], vcc
	s_cbranch_execz .LBB4_1598
; %bb.1597:
	s_bcnt1_i32_b64 s15, s[16:17]
	v_mov_b32_e32 v2, s15
	s_waitcnt vmcnt(0)
	global_atomic_add_x2 v[0:1], v[2:3], off offset:8
.LBB4_1598:
	s_or_b64 exec, exec, s[18:19]
	s_waitcnt vmcnt(0)
	global_load_dwordx2 v[2:3], v[0:1], off offset:16
	s_waitcnt vmcnt(0)
	v_cmp_eq_u64_e32 vcc, 0, v[2:3]
	s_cbranch_vccnz .LBB4_1600
; %bb.1599:
	global_load_dword v0, v[0:1], off offset:24
	v_mov_b32_e32 v1, 0
	s_waitcnt vmcnt(0)
	global_store_dwordx2 v[2:3], v[0:1], off
	v_and_b32_e32 v0, 0xffffff, v0
	v_readfirstlane_b32 m0, v0
	s_sendmsg sendmsg(MSG_INTERRUPT)
.LBB4_1600:
	s_or_b64 exec, exec, s[10:11]
	s_branch .LBB4_1604
.LBB4_1601:                             ;   in Loop: Header=BB4_1604 Depth=1
	s_or_b64 exec, exec, s[10:11]
	v_readfirstlane_b32 s10, v0
	s_cmp_eq_u32 s10, 0
	s_cbranch_scc1 .LBB4_1603
; %bb.1602:                             ;   in Loop: Header=BB4_1604 Depth=1
	s_sleep 1
	s_cbranch_execnz .LBB4_1604
	s_branch .LBB4_1606
.LBB4_1603:
	s_branch .LBB4_1606
.LBB4_1604:                             ; =>This Inner Loop Header: Depth=1
	v_mov_b32_e32 v0, 1
	s_and_saveexec_b64 s[10:11], s[4:5]
	s_cbranch_execz .LBB4_1601
; %bb.1605:                             ;   in Loop: Header=BB4_1604 Depth=1
	global_load_dword v0, v[7:8], off offset:20 glc
	s_waitcnt vmcnt(0)
	buffer_wbinvl1_vol
	v_and_b32_e32 v0, 1, v0
	s_branch .LBB4_1601
.LBB4_1606:
	global_load_dwordx2 v[0:1], v[9:10], off
	s_and_saveexec_b64 s[10:11], s[4:5]
	s_cbranch_execz .LBB4_1609
; %bb.1607:
	v_mov_b32_e32 v8, 0
	global_load_dwordx2 v[4:5], v8, s[36:37] offset:40
	global_load_dwordx2 v[9:10], v8, s[36:37] offset:24 glc
	global_load_dwordx2 v[6:7], v8, s[36:37]
	v_mov_b32_e32 v3, s7
	s_mov_b64 s[4:5], 0
	s_waitcnt vmcnt(2)
	v_add_co_u32_e32 v11, vcc, 1, v4
	v_addc_co_u32_e32 v12, vcc, 0, v5, vcc
	v_add_co_u32_e32 v2, vcc, s6, v11
	v_addc_co_u32_e32 v3, vcc, v12, v3, vcc
	v_cmp_eq_u64_e32 vcc, 0, v[2:3]
	v_cndmask_b32_e32 v3, v3, v12, vcc
	v_cndmask_b32_e32 v2, v2, v11, vcc
	v_and_b32_e32 v5, v3, v5
	v_and_b32_e32 v4, v2, v4
	v_mul_lo_u32 v5, v5, 24
	v_mul_hi_u32 v11, v4, 24
	v_mul_lo_u32 v12, v4, 24
	s_waitcnt vmcnt(1)
	v_mov_b32_e32 v4, v9
	v_add_u32_e32 v5, v11, v5
	s_waitcnt vmcnt(0)
	v_add_co_u32_e32 v6, vcc, v6, v12
	v_addc_co_u32_e32 v7, vcc, v7, v5, vcc
	global_store_dwordx2 v[6:7], v[9:10], off
	v_mov_b32_e32 v5, v10
	s_waitcnt vmcnt(0)
	global_atomic_cmpswap_x2 v[4:5], v8, v[2:5], s[36:37] offset:24 glc
	s_waitcnt vmcnt(0)
	v_cmp_ne_u64_e32 vcc, v[4:5], v[9:10]
	s_and_b64 exec, exec, vcc
	s_cbranch_execz .LBB4_1609
.LBB4_1608:                             ; =>This Inner Loop Header: Depth=1
	s_sleep 1
	global_store_dwordx2 v[6:7], v[4:5], off
	s_waitcnt vmcnt(0)
	global_atomic_cmpswap_x2 v[9:10], v8, v[2:5], s[36:37] offset:24 glc
	s_waitcnt vmcnt(0)
	v_cmp_eq_u64_e32 vcc, v[9:10], v[4:5]
	v_mov_b32_e32 v4, v9
	s_or_b64 s[4:5], vcc, s[4:5]
	v_mov_b32_e32 v5, v10
	s_andn2_b64 exec, exec, s[4:5]
	s_cbranch_execnz .LBB4_1608
.LBB4_1609:
	s_or_b64 exec, exec, s[10:11]
	s_and_b64 vcc, exec, s[40:41]
	s_cbranch_vccz .LBB4_1694
; %bb.1610:
	s_waitcnt vmcnt(0)
	v_and_b32_e32 v31, 2, v0
	v_mov_b32_e32 v28, 0
	v_and_b32_e32 v2, -3, v0
	v_mov_b32_e32 v3, v1
	s_mov_b64 s[10:11], 3
	v_mov_b32_e32 v6, 2
	v_mov_b32_e32 v7, 1
	s_getpc_b64 s[6:7]
	s_add_u32 s6, s6, .str.6@rel32@lo+4
	s_addc_u32 s7, s7, .str.6@rel32@hi+12
	s_branch .LBB4_1612
.LBB4_1611:                             ;   in Loop: Header=BB4_1612 Depth=1
	s_or_b64 exec, exec, s[20:21]
	s_sub_u32 s10, s10, s16
	s_subb_u32 s11, s11, s17
	s_add_u32 s6, s6, s16
	s_addc_u32 s7, s7, s17
	s_cmp_lg_u64 s[10:11], 0
	s_cbranch_scc0 .LBB4_1693
.LBB4_1612:                             ; =>This Loop Header: Depth=1
                                        ;     Child Loop BB4_1615 Depth 2
                                        ;     Child Loop BB4_1622 Depth 2
	;; [unrolled: 1-line block ×11, first 2 shown]
	v_cmp_lt_u64_e64 s[4:5], s[10:11], 56
	v_cmp_gt_u64_e64 s[18:19], s[10:11], 7
	s_and_b64 s[4:5], s[4:5], exec
	s_cselect_b32 s17, s11, 0
	s_cselect_b32 s16, s10, 56
	s_and_b64 vcc, exec, s[18:19]
	s_cbranch_vccnz .LBB4_1617
; %bb.1613:                             ;   in Loop: Header=BB4_1612 Depth=1
	v_mov_b32_e32 v10, 0
	s_cmp_eq_u64 s[10:11], 0
	v_mov_b32_e32 v11, 0
	s_mov_b64 s[4:5], 0
	s_cbranch_scc1 .LBB4_1616
; %bb.1614:                             ;   in Loop: Header=BB4_1612 Depth=1
	v_mov_b32_e32 v10, 0
	s_lshl_b64 s[18:19], s[16:17], 3
	s_mov_b64 s[20:21], 0
	v_mov_b32_e32 v11, 0
	s_mov_b64 s[22:23], s[6:7]
.LBB4_1615:                             ;   Parent Loop BB4_1612 Depth=1
                                        ; =>  This Inner Loop Header: Depth=2
	global_load_ubyte v4, v28, s[22:23]
	s_waitcnt vmcnt(0)
	v_and_b32_e32 v27, 0xffff, v4
	v_lshlrev_b64 v[4:5], s20, v[27:28]
	s_add_u32 s20, s20, 8
	s_addc_u32 s21, s21, 0
	s_add_u32 s22, s22, 1
	s_addc_u32 s23, s23, 0
	v_or_b32_e32 v10, v4, v10
	s_cmp_lg_u32 s18, s20
	v_or_b32_e32 v11, v5, v11
	s_cbranch_scc1 .LBB4_1615
.LBB4_1616:                             ;   in Loop: Header=BB4_1612 Depth=1
	s_mov_b32 s15, 0
	s_andn2_b64 vcc, exec, s[4:5]
	s_mov_b64 s[4:5], s[6:7]
	s_cbranch_vccz .LBB4_1618
	s_branch .LBB4_1619
.LBB4_1617:                             ;   in Loop: Header=BB4_1612 Depth=1
                                        ; implicit-def: $vgpr10_vgpr11
                                        ; implicit-def: $sgpr15
	s_mov_b64 s[4:5], s[6:7]
.LBB4_1618:                             ;   in Loop: Header=BB4_1612 Depth=1
	global_load_dwordx2 v[10:11], v28, s[6:7]
	s_add_i32 s15, s16, -8
	s_add_u32 s4, s6, 8
	s_addc_u32 s5, s7, 0
.LBB4_1619:                             ;   in Loop: Header=BB4_1612 Depth=1
	s_cmp_gt_u32 s15, 7
	s_cbranch_scc1 .LBB4_1623
; %bb.1620:                             ;   in Loop: Header=BB4_1612 Depth=1
	s_cmp_eq_u32 s15, 0
	s_cbranch_scc1 .LBB4_1624
; %bb.1621:                             ;   in Loop: Header=BB4_1612 Depth=1
	v_mov_b32_e32 v12, 0
	s_mov_b64 s[18:19], 0
	v_mov_b32_e32 v13, 0
	s_mov_b64 s[20:21], 0
.LBB4_1622:                             ;   Parent Loop BB4_1612 Depth=1
                                        ; =>  This Inner Loop Header: Depth=2
	s_add_u32 s22, s4, s20
	s_addc_u32 s23, s5, s21
	global_load_ubyte v4, v28, s[22:23]
	s_add_u32 s20, s20, 1
	s_addc_u32 s21, s21, 0
	s_waitcnt vmcnt(0)
	v_and_b32_e32 v27, 0xffff, v4
	v_lshlrev_b64 v[4:5], s18, v[27:28]
	s_add_u32 s18, s18, 8
	s_addc_u32 s19, s19, 0
	v_or_b32_e32 v12, v4, v12
	s_cmp_lg_u32 s15, s20
	v_or_b32_e32 v13, v5, v13
	s_cbranch_scc1 .LBB4_1622
	s_branch .LBB4_1625
.LBB4_1623:                             ;   in Loop: Header=BB4_1612 Depth=1
                                        ; implicit-def: $vgpr12_vgpr13
                                        ; implicit-def: $sgpr22
	s_branch .LBB4_1626
.LBB4_1624:                             ;   in Loop: Header=BB4_1612 Depth=1
	v_mov_b32_e32 v12, 0
	v_mov_b32_e32 v13, 0
.LBB4_1625:                             ;   in Loop: Header=BB4_1612 Depth=1
	s_mov_b32 s22, 0
	s_cbranch_execnz .LBB4_1627
.LBB4_1626:                             ;   in Loop: Header=BB4_1612 Depth=1
	global_load_dwordx2 v[12:13], v28, s[4:5]
	s_add_i32 s22, s15, -8
	s_add_u32 s4, s4, 8
	s_addc_u32 s5, s5, 0
.LBB4_1627:                             ;   in Loop: Header=BB4_1612 Depth=1
	s_cmp_gt_u32 s22, 7
	s_cbranch_scc1 .LBB4_1631
; %bb.1628:                             ;   in Loop: Header=BB4_1612 Depth=1
	s_cmp_eq_u32 s22, 0
	s_cbranch_scc1 .LBB4_1632
; %bb.1629:                             ;   in Loop: Header=BB4_1612 Depth=1
	v_mov_b32_e32 v14, 0
	s_mov_b64 s[18:19], 0
	v_mov_b32_e32 v15, 0
	s_mov_b64 s[20:21], 0
.LBB4_1630:                             ;   Parent Loop BB4_1612 Depth=1
                                        ; =>  This Inner Loop Header: Depth=2
	s_add_u32 s24, s4, s20
	s_addc_u32 s25, s5, s21
	global_load_ubyte v4, v28, s[24:25]
	s_add_u32 s20, s20, 1
	s_addc_u32 s21, s21, 0
	s_waitcnt vmcnt(0)
	v_and_b32_e32 v27, 0xffff, v4
	v_lshlrev_b64 v[4:5], s18, v[27:28]
	s_add_u32 s18, s18, 8
	s_addc_u32 s19, s19, 0
	v_or_b32_e32 v14, v4, v14
	s_cmp_lg_u32 s22, s20
	v_or_b32_e32 v15, v5, v15
	s_cbranch_scc1 .LBB4_1630
	s_branch .LBB4_1633
.LBB4_1631:                             ;   in Loop: Header=BB4_1612 Depth=1
                                        ; implicit-def: $sgpr15
	s_branch .LBB4_1634
.LBB4_1632:                             ;   in Loop: Header=BB4_1612 Depth=1
	v_mov_b32_e32 v14, 0
	v_mov_b32_e32 v15, 0
.LBB4_1633:                             ;   in Loop: Header=BB4_1612 Depth=1
	s_mov_b32 s15, 0
	s_cbranch_execnz .LBB4_1635
.LBB4_1634:                             ;   in Loop: Header=BB4_1612 Depth=1
	global_load_dwordx2 v[14:15], v28, s[4:5]
	s_add_i32 s15, s22, -8
	s_add_u32 s4, s4, 8
	s_addc_u32 s5, s5, 0
.LBB4_1635:                             ;   in Loop: Header=BB4_1612 Depth=1
	s_cmp_gt_u32 s15, 7
	s_cbranch_scc1 .LBB4_1639
; %bb.1636:                             ;   in Loop: Header=BB4_1612 Depth=1
	s_cmp_eq_u32 s15, 0
	s_cbranch_scc1 .LBB4_1640
; %bb.1637:                             ;   in Loop: Header=BB4_1612 Depth=1
	v_mov_b32_e32 v16, 0
	s_mov_b64 s[18:19], 0
	v_mov_b32_e32 v17, 0
	s_mov_b64 s[20:21], 0
.LBB4_1638:                             ;   Parent Loop BB4_1612 Depth=1
                                        ; =>  This Inner Loop Header: Depth=2
	s_add_u32 s22, s4, s20
	s_addc_u32 s23, s5, s21
	global_load_ubyte v4, v28, s[22:23]
	s_add_u32 s20, s20, 1
	s_addc_u32 s21, s21, 0
	s_waitcnt vmcnt(0)
	v_and_b32_e32 v27, 0xffff, v4
	v_lshlrev_b64 v[4:5], s18, v[27:28]
	s_add_u32 s18, s18, 8
	s_addc_u32 s19, s19, 0
	v_or_b32_e32 v16, v4, v16
	s_cmp_lg_u32 s15, s20
	v_or_b32_e32 v17, v5, v17
	s_cbranch_scc1 .LBB4_1638
	s_branch .LBB4_1641
.LBB4_1639:                             ;   in Loop: Header=BB4_1612 Depth=1
                                        ; implicit-def: $vgpr16_vgpr17
                                        ; implicit-def: $sgpr22
	s_branch .LBB4_1642
.LBB4_1640:                             ;   in Loop: Header=BB4_1612 Depth=1
	v_mov_b32_e32 v16, 0
	v_mov_b32_e32 v17, 0
.LBB4_1641:                             ;   in Loop: Header=BB4_1612 Depth=1
	s_mov_b32 s22, 0
	s_cbranch_execnz .LBB4_1643
.LBB4_1642:                             ;   in Loop: Header=BB4_1612 Depth=1
	global_load_dwordx2 v[16:17], v28, s[4:5]
	s_add_i32 s22, s15, -8
	s_add_u32 s4, s4, 8
	s_addc_u32 s5, s5, 0
.LBB4_1643:                             ;   in Loop: Header=BB4_1612 Depth=1
	s_cmp_gt_u32 s22, 7
	s_cbranch_scc1 .LBB4_1647
; %bb.1644:                             ;   in Loop: Header=BB4_1612 Depth=1
	s_cmp_eq_u32 s22, 0
	s_cbranch_scc1 .LBB4_1648
; %bb.1645:                             ;   in Loop: Header=BB4_1612 Depth=1
	v_mov_b32_e32 v18, 0
	s_mov_b64 s[18:19], 0
	v_mov_b32_e32 v19, 0
	s_mov_b64 s[20:21], 0
.LBB4_1646:                             ;   Parent Loop BB4_1612 Depth=1
                                        ; =>  This Inner Loop Header: Depth=2
	s_add_u32 s24, s4, s20
	s_addc_u32 s25, s5, s21
	global_load_ubyte v4, v28, s[24:25]
	s_add_u32 s20, s20, 1
	s_addc_u32 s21, s21, 0
	s_waitcnt vmcnt(0)
	v_and_b32_e32 v27, 0xffff, v4
	v_lshlrev_b64 v[4:5], s18, v[27:28]
	s_add_u32 s18, s18, 8
	s_addc_u32 s19, s19, 0
	v_or_b32_e32 v18, v4, v18
	s_cmp_lg_u32 s22, s20
	v_or_b32_e32 v19, v5, v19
	s_cbranch_scc1 .LBB4_1646
	s_branch .LBB4_1649
.LBB4_1647:                             ;   in Loop: Header=BB4_1612 Depth=1
                                        ; implicit-def: $sgpr15
	s_branch .LBB4_1650
.LBB4_1648:                             ;   in Loop: Header=BB4_1612 Depth=1
	v_mov_b32_e32 v18, 0
	v_mov_b32_e32 v19, 0
.LBB4_1649:                             ;   in Loop: Header=BB4_1612 Depth=1
	s_mov_b32 s15, 0
	s_cbranch_execnz .LBB4_1651
.LBB4_1650:                             ;   in Loop: Header=BB4_1612 Depth=1
	global_load_dwordx2 v[18:19], v28, s[4:5]
	s_add_i32 s15, s22, -8
	s_add_u32 s4, s4, 8
	s_addc_u32 s5, s5, 0
.LBB4_1651:                             ;   in Loop: Header=BB4_1612 Depth=1
	s_cmp_gt_u32 s15, 7
	s_cbranch_scc1 .LBB4_1655
; %bb.1652:                             ;   in Loop: Header=BB4_1612 Depth=1
	s_cmp_eq_u32 s15, 0
	s_cbranch_scc1 .LBB4_1656
; %bb.1653:                             ;   in Loop: Header=BB4_1612 Depth=1
	v_mov_b32_e32 v20, 0
	s_mov_b64 s[18:19], 0
	v_mov_b32_e32 v21, 0
	s_mov_b64 s[20:21], 0
.LBB4_1654:                             ;   Parent Loop BB4_1612 Depth=1
                                        ; =>  This Inner Loop Header: Depth=2
	s_add_u32 s22, s4, s20
	s_addc_u32 s23, s5, s21
	global_load_ubyte v4, v28, s[22:23]
	s_add_u32 s20, s20, 1
	s_addc_u32 s21, s21, 0
	s_waitcnt vmcnt(0)
	v_and_b32_e32 v27, 0xffff, v4
	v_lshlrev_b64 v[4:5], s18, v[27:28]
	s_add_u32 s18, s18, 8
	s_addc_u32 s19, s19, 0
	v_or_b32_e32 v20, v4, v20
	s_cmp_lg_u32 s15, s20
	v_or_b32_e32 v21, v5, v21
	s_cbranch_scc1 .LBB4_1654
	s_branch .LBB4_1657
.LBB4_1655:                             ;   in Loop: Header=BB4_1612 Depth=1
                                        ; implicit-def: $vgpr20_vgpr21
                                        ; implicit-def: $sgpr22
	s_branch .LBB4_1658
.LBB4_1656:                             ;   in Loop: Header=BB4_1612 Depth=1
	v_mov_b32_e32 v20, 0
	v_mov_b32_e32 v21, 0
.LBB4_1657:                             ;   in Loop: Header=BB4_1612 Depth=1
	s_mov_b32 s22, 0
	s_cbranch_execnz .LBB4_1659
.LBB4_1658:                             ;   in Loop: Header=BB4_1612 Depth=1
	global_load_dwordx2 v[20:21], v28, s[4:5]
	s_add_i32 s22, s15, -8
	s_add_u32 s4, s4, 8
	s_addc_u32 s5, s5, 0
.LBB4_1659:                             ;   in Loop: Header=BB4_1612 Depth=1
	s_cmp_gt_u32 s22, 7
	s_cbranch_scc1 .LBB4_1663
; %bb.1660:                             ;   in Loop: Header=BB4_1612 Depth=1
	s_cmp_eq_u32 s22, 0
	s_cbranch_scc1 .LBB4_1664
; %bb.1661:                             ;   in Loop: Header=BB4_1612 Depth=1
	v_mov_b32_e32 v22, 0
	s_mov_b64 s[18:19], 0
	v_mov_b32_e32 v23, 0
	s_mov_b64 s[20:21], s[4:5]
.LBB4_1662:                             ;   Parent Loop BB4_1612 Depth=1
                                        ; =>  This Inner Loop Header: Depth=2
	global_load_ubyte v4, v28, s[20:21]
	s_add_i32 s22, s22, -1
	s_waitcnt vmcnt(0)
	v_and_b32_e32 v27, 0xffff, v4
	v_lshlrev_b64 v[4:5], s18, v[27:28]
	s_add_u32 s18, s18, 8
	s_addc_u32 s19, s19, 0
	s_add_u32 s20, s20, 1
	s_addc_u32 s21, s21, 0
	v_or_b32_e32 v22, v4, v22
	s_cmp_lg_u32 s22, 0
	v_or_b32_e32 v23, v5, v23
	s_cbranch_scc1 .LBB4_1662
	s_branch .LBB4_1665
.LBB4_1663:                             ;   in Loop: Header=BB4_1612 Depth=1
	s_branch .LBB4_1666
.LBB4_1664:                             ;   in Loop: Header=BB4_1612 Depth=1
	v_mov_b32_e32 v22, 0
	v_mov_b32_e32 v23, 0
.LBB4_1665:                             ;   in Loop: Header=BB4_1612 Depth=1
	s_cbranch_execnz .LBB4_1667
.LBB4_1666:                             ;   in Loop: Header=BB4_1612 Depth=1
	global_load_dwordx2 v[22:23], v28, s[4:5]
.LBB4_1667:                             ;   in Loop: Header=BB4_1612 Depth=1
	v_readfirstlane_b32 s4, v50
	s_waitcnt vmcnt(0)
	v_mov_b32_e32 v4, 0
	v_mov_b32_e32 v5, 0
	v_cmp_eq_u32_e64 s[4:5], s4, v50
	s_and_saveexec_b64 s[18:19], s[4:5]
	s_cbranch_execz .LBB4_1673
; %bb.1668:                             ;   in Loop: Header=BB4_1612 Depth=1
	global_load_dwordx2 v[26:27], v28, s[36:37] offset:24 glc
	s_waitcnt vmcnt(0)
	buffer_wbinvl1_vol
	global_load_dwordx2 v[4:5], v28, s[36:37] offset:40
	global_load_dwordx2 v[8:9], v28, s[36:37]
	s_waitcnt vmcnt(1)
	v_and_b32_e32 v4, v4, v26
	v_and_b32_e32 v5, v5, v27
	v_mul_lo_u32 v5, v5, 24
	v_mul_hi_u32 v24, v4, 24
	v_mul_lo_u32 v4, v4, 24
	v_add_u32_e32 v5, v24, v5
	s_waitcnt vmcnt(0)
	v_add_co_u32_e32 v4, vcc, v8, v4
	v_addc_co_u32_e32 v5, vcc, v9, v5, vcc
	global_load_dwordx2 v[24:25], v[4:5], off glc
	s_waitcnt vmcnt(0)
	global_atomic_cmpswap_x2 v[4:5], v28, v[24:27], s[36:37] offset:24 glc
	s_waitcnt vmcnt(0)
	buffer_wbinvl1_vol
	v_cmp_ne_u64_e32 vcc, v[4:5], v[26:27]
	s_and_saveexec_b64 s[20:21], vcc
	s_cbranch_execz .LBB4_1672
; %bb.1669:                             ;   in Loop: Header=BB4_1612 Depth=1
	s_mov_b64 s[22:23], 0
.LBB4_1670:                             ;   Parent Loop BB4_1612 Depth=1
                                        ; =>  This Inner Loop Header: Depth=2
	s_sleep 1
	global_load_dwordx2 v[8:9], v28, s[36:37] offset:40
	global_load_dwordx2 v[24:25], v28, s[36:37]
	v_mov_b32_e32 v27, v5
	v_mov_b32_e32 v26, v4
	s_waitcnt vmcnt(1)
	v_and_b32_e32 v4, v8, v26
	s_waitcnt vmcnt(0)
	v_mad_u64_u32 v[4:5], s[24:25], v4, 24, v[24:25]
	v_and_b32_e32 v8, v9, v27
	v_mad_u64_u32 v[8:9], s[24:25], v8, 24, v[5:6]
	v_mov_b32_e32 v5, v8
	global_load_dwordx2 v[24:25], v[4:5], off glc
	s_waitcnt vmcnt(0)
	global_atomic_cmpswap_x2 v[4:5], v28, v[24:27], s[36:37] offset:24 glc
	s_waitcnt vmcnt(0)
	buffer_wbinvl1_vol
	v_cmp_eq_u64_e32 vcc, v[4:5], v[26:27]
	s_or_b64 s[22:23], vcc, s[22:23]
	s_andn2_b64 exec, exec, s[22:23]
	s_cbranch_execnz .LBB4_1670
; %bb.1671:                             ;   in Loop: Header=BB4_1612 Depth=1
	s_or_b64 exec, exec, s[22:23]
.LBB4_1672:                             ;   in Loop: Header=BB4_1612 Depth=1
	s_or_b64 exec, exec, s[20:21]
.LBB4_1673:                             ;   in Loop: Header=BB4_1612 Depth=1
	s_or_b64 exec, exec, s[18:19]
	global_load_dwordx2 v[8:9], v28, s[36:37] offset:40
	global_load_dwordx4 v[24:27], v28, s[36:37]
	v_readfirstlane_b32 s18, v4
	v_readfirstlane_b32 s19, v5
	s_mov_b64 s[20:21], exec
	s_waitcnt vmcnt(1)
	v_readfirstlane_b32 s22, v8
	v_readfirstlane_b32 s23, v9
	s_and_b64 s[22:23], s[18:19], s[22:23]
	s_mul_i32 s15, s23, 24
	s_mul_hi_u32 s24, s22, 24
	s_mul_i32 s25, s22, 24
	s_add_i32 s15, s24, s15
	v_mov_b32_e32 v4, s15
	s_waitcnt vmcnt(0)
	v_add_co_u32_e32 v29, vcc, s25, v24
	v_addc_co_u32_e32 v30, vcc, v25, v4, vcc
	s_and_saveexec_b64 s[24:25], s[4:5]
	s_cbranch_execz .LBB4_1675
; %bb.1674:                             ;   in Loop: Header=BB4_1612 Depth=1
	v_mov_b32_e32 v4, s20
	v_mov_b32_e32 v5, s21
	global_store_dwordx4 v[29:30], v[4:7], off offset:8
.LBB4_1675:                             ;   in Loop: Header=BB4_1612 Depth=1
	s_or_b64 exec, exec, s[24:25]
	s_lshl_b64 s[20:21], s[22:23], 12
	v_mov_b32_e32 v4, s21
	v_add_co_u32_e32 v26, vcc, s20, v26
	v_addc_co_u32_e32 v32, vcc, v27, v4, vcc
	v_cmp_gt_u64_e64 vcc, s[10:11], 56
	v_or_b32_e32 v5, v2, v31
	s_lshl_b32 s15, s16, 2
	v_cndmask_b32_e32 v2, v5, v2, vcc
	s_add_i32 s15, s15, 28
	v_or_b32_e32 v4, 0, v3
	s_and_b32 s15, s15, 0x1e0
	v_and_b32_e32 v2, 0xffffff1f, v2
	v_cndmask_b32_e32 v9, v4, v3, vcc
	v_or_b32_e32 v8, s15, v2
	v_readfirstlane_b32 s20, v26
	v_readfirstlane_b32 s21, v32
	s_nop 4
	global_store_dwordx4 v39, v[8:11], s[20:21]
	global_store_dwordx4 v39, v[12:15], s[20:21] offset:16
	global_store_dwordx4 v39, v[16:19], s[20:21] offset:32
	;; [unrolled: 1-line block ×3, first 2 shown]
	s_and_saveexec_b64 s[20:21], s[4:5]
	s_cbranch_execz .LBB4_1683
; %bb.1676:                             ;   in Loop: Header=BB4_1612 Depth=1
	global_load_dwordx2 v[12:13], v28, s[36:37] offset:32 glc
	global_load_dwordx2 v[2:3], v28, s[36:37] offset:40
	v_mov_b32_e32 v10, s18
	v_mov_b32_e32 v11, s19
	s_waitcnt vmcnt(0)
	v_readfirstlane_b32 s22, v2
	v_readfirstlane_b32 s23, v3
	s_and_b64 s[22:23], s[22:23], s[18:19]
	s_mul_i32 s15, s23, 24
	s_mul_hi_u32 s23, s22, 24
	s_mul_i32 s22, s22, 24
	s_add_i32 s15, s23, s15
	v_mov_b32_e32 v2, s15
	v_add_co_u32_e32 v8, vcc, s22, v24
	v_addc_co_u32_e32 v9, vcc, v25, v2, vcc
	global_store_dwordx2 v[8:9], v[12:13], off
	s_waitcnt vmcnt(0)
	global_atomic_cmpswap_x2 v[4:5], v28, v[10:13], s[36:37] offset:32 glc
	s_waitcnt vmcnt(0)
	v_cmp_ne_u64_e32 vcc, v[4:5], v[12:13]
	s_and_saveexec_b64 s[22:23], vcc
	s_cbranch_execz .LBB4_1679
; %bb.1677:                             ;   in Loop: Header=BB4_1612 Depth=1
	s_mov_b64 s[24:25], 0
.LBB4_1678:                             ;   Parent Loop BB4_1612 Depth=1
                                        ; =>  This Inner Loop Header: Depth=2
	s_sleep 1
	global_store_dwordx2 v[8:9], v[4:5], off
	v_mov_b32_e32 v2, s18
	v_mov_b32_e32 v3, s19
	s_waitcnt vmcnt(0)
	global_atomic_cmpswap_x2 v[2:3], v28, v[2:5], s[36:37] offset:32 glc
	s_waitcnt vmcnt(0)
	v_cmp_eq_u64_e32 vcc, v[2:3], v[4:5]
	v_mov_b32_e32 v5, v3
	s_or_b64 s[24:25], vcc, s[24:25]
	v_mov_b32_e32 v4, v2
	s_andn2_b64 exec, exec, s[24:25]
	s_cbranch_execnz .LBB4_1678
.LBB4_1679:                             ;   in Loop: Header=BB4_1612 Depth=1
	s_or_b64 exec, exec, s[22:23]
	global_load_dwordx2 v[2:3], v28, s[36:37] offset:16
	s_mov_b64 s[24:25], exec
	v_mbcnt_lo_u32_b32 v4, s24, 0
	v_mbcnt_hi_u32_b32 v4, s25, v4
	v_cmp_eq_u32_e32 vcc, 0, v4
	s_and_saveexec_b64 s[22:23], vcc
	s_cbranch_execz .LBB4_1681
; %bb.1680:                             ;   in Loop: Header=BB4_1612 Depth=1
	s_bcnt1_i32_b64 s15, s[24:25]
	v_mov_b32_e32 v27, s15
	s_waitcnt vmcnt(0)
	global_atomic_add_x2 v[2:3], v[27:28], off offset:8
.LBB4_1681:                             ;   in Loop: Header=BB4_1612 Depth=1
	s_or_b64 exec, exec, s[22:23]
	s_waitcnt vmcnt(0)
	global_load_dwordx2 v[4:5], v[2:3], off offset:16
	s_waitcnt vmcnt(0)
	v_cmp_eq_u64_e32 vcc, 0, v[4:5]
	s_cbranch_vccnz .LBB4_1683
; %bb.1682:                             ;   in Loop: Header=BB4_1612 Depth=1
	global_load_dword v27, v[2:3], off offset:24
	s_waitcnt vmcnt(0)
	v_and_b32_e32 v2, 0xffffff, v27
	v_readfirstlane_b32 m0, v2
	global_store_dwordx2 v[4:5], v[27:28], off
	s_sendmsg sendmsg(MSG_INTERRUPT)
.LBB4_1683:                             ;   in Loop: Header=BB4_1612 Depth=1
	s_or_b64 exec, exec, s[20:21]
	v_add_co_u32_e32 v2, vcc, v26, v39
	v_addc_co_u32_e32 v3, vcc, 0, v32, vcc
	s_branch .LBB4_1687
.LBB4_1684:                             ;   in Loop: Header=BB4_1687 Depth=2
	s_or_b64 exec, exec, s[20:21]
	v_readfirstlane_b32 s15, v4
	s_cmp_eq_u32 s15, 0
	s_cbranch_scc1 .LBB4_1686
; %bb.1685:                             ;   in Loop: Header=BB4_1687 Depth=2
	s_sleep 1
	s_cbranch_execnz .LBB4_1687
	s_branch .LBB4_1689
.LBB4_1686:                             ;   in Loop: Header=BB4_1612 Depth=1
	s_branch .LBB4_1689
.LBB4_1687:                             ;   Parent Loop BB4_1612 Depth=1
                                        ; =>  This Inner Loop Header: Depth=2
	v_mov_b32_e32 v4, 1
	s_and_saveexec_b64 s[20:21], s[4:5]
	s_cbranch_execz .LBB4_1684
; %bb.1688:                             ;   in Loop: Header=BB4_1687 Depth=2
	global_load_dword v4, v[29:30], off offset:20 glc
	s_waitcnt vmcnt(0)
	buffer_wbinvl1_vol
	v_and_b32_e32 v4, 1, v4
	s_branch .LBB4_1684
.LBB4_1689:                             ;   in Loop: Header=BB4_1612 Depth=1
	global_load_dwordx4 v[2:5], v[2:3], off
	s_and_saveexec_b64 s[20:21], s[4:5]
	s_cbranch_execz .LBB4_1611
; %bb.1690:                             ;   in Loop: Header=BB4_1612 Depth=1
	global_load_dwordx2 v[4:5], v28, s[36:37] offset:40
	global_load_dwordx2 v[12:13], v28, s[36:37] offset:24 glc
	global_load_dwordx2 v[14:15], v28, s[36:37]
	v_mov_b32_e32 v9, s19
	s_waitcnt vmcnt(2)
	v_add_co_u32_e32 v10, vcc, 1, v4
	v_addc_co_u32_e32 v11, vcc, 0, v5, vcc
	v_add_co_u32_e32 v8, vcc, s18, v10
	v_addc_co_u32_e32 v9, vcc, v11, v9, vcc
	v_cmp_eq_u64_e32 vcc, 0, v[8:9]
	v_cndmask_b32_e32 v9, v9, v11, vcc
	v_cndmask_b32_e32 v8, v8, v10, vcc
	v_and_b32_e32 v5, v9, v5
	v_and_b32_e32 v4, v8, v4
	v_mul_lo_u32 v5, v5, 24
	v_mul_hi_u32 v11, v4, 24
	v_mul_lo_u32 v4, v4, 24
	s_waitcnt vmcnt(1)
	v_mov_b32_e32 v10, v12
	v_add_u32_e32 v5, v11, v5
	s_waitcnt vmcnt(0)
	v_add_co_u32_e32 v4, vcc, v14, v4
	v_addc_co_u32_e32 v5, vcc, v15, v5, vcc
	global_store_dwordx2 v[4:5], v[12:13], off
	v_mov_b32_e32 v11, v13
	s_waitcnt vmcnt(0)
	global_atomic_cmpswap_x2 v[10:11], v28, v[8:11], s[36:37] offset:24 glc
	s_waitcnt vmcnt(0)
	v_cmp_ne_u64_e32 vcc, v[10:11], v[12:13]
	s_and_b64 exec, exec, vcc
	s_cbranch_execz .LBB4_1611
; %bb.1691:                             ;   in Loop: Header=BB4_1612 Depth=1
	s_mov_b64 s[4:5], 0
.LBB4_1692:                             ;   Parent Loop BB4_1612 Depth=1
                                        ; =>  This Inner Loop Header: Depth=2
	s_sleep 1
	global_store_dwordx2 v[4:5], v[10:11], off
	s_waitcnt vmcnt(0)
	global_atomic_cmpswap_x2 v[12:13], v28, v[8:11], s[36:37] offset:24 glc
	s_waitcnt vmcnt(0)
	v_cmp_eq_u64_e32 vcc, v[12:13], v[10:11]
	v_mov_b32_e32 v10, v12
	s_or_b64 s[4:5], vcc, s[4:5]
	v_mov_b32_e32 v11, v13
	s_andn2_b64 exec, exec, s[4:5]
	s_cbranch_execnz .LBB4_1692
	s_branch .LBB4_1611
.LBB4_1693:
	s_branch .LBB4_1721
.LBB4_1694:
                                        ; implicit-def: $vgpr2_vgpr3
	s_cbranch_execz .LBB4_1721
; %bb.1695:
	v_readfirstlane_b32 s4, v50
	v_mov_b32_e32 v8, 0
	v_mov_b32_e32 v9, 0
	v_cmp_eq_u32_e64 s[4:5], s4, v50
	s_and_saveexec_b64 s[6:7], s[4:5]
	s_cbranch_execz .LBB4_1701
; %bb.1696:
	s_waitcnt vmcnt(0)
	v_mov_b32_e32 v2, 0
	global_load_dwordx2 v[5:6], v2, s[36:37] offset:24 glc
	s_waitcnt vmcnt(0)
	buffer_wbinvl1_vol
	global_load_dwordx2 v[3:4], v2, s[36:37] offset:40
	global_load_dwordx2 v[7:8], v2, s[36:37]
	s_waitcnt vmcnt(1)
	v_and_b32_e32 v3, v3, v5
	v_and_b32_e32 v4, v4, v6
	v_mul_lo_u32 v4, v4, 24
	v_mul_hi_u32 v9, v3, 24
	v_mul_lo_u32 v3, v3, 24
	v_add_u32_e32 v4, v9, v4
	s_waitcnt vmcnt(0)
	v_add_co_u32_e32 v3, vcc, v7, v3
	v_addc_co_u32_e32 v4, vcc, v8, v4, vcc
	global_load_dwordx2 v[3:4], v[3:4], off glc
	s_waitcnt vmcnt(0)
	global_atomic_cmpswap_x2 v[8:9], v2, v[3:6], s[36:37] offset:24 glc
	s_waitcnt vmcnt(0)
	buffer_wbinvl1_vol
	v_cmp_ne_u64_e32 vcc, v[8:9], v[5:6]
	s_and_saveexec_b64 s[10:11], vcc
	s_cbranch_execz .LBB4_1700
; %bb.1697:
	s_mov_b64 s[16:17], 0
.LBB4_1698:                             ; =>This Inner Loop Header: Depth=1
	s_sleep 1
	global_load_dwordx2 v[3:4], v2, s[36:37] offset:40
	global_load_dwordx2 v[10:11], v2, s[36:37]
	v_mov_b32_e32 v5, v8
	v_mov_b32_e32 v6, v9
	s_waitcnt vmcnt(1)
	v_and_b32_e32 v3, v3, v5
	s_waitcnt vmcnt(0)
	v_mad_u64_u32 v[7:8], s[18:19], v3, 24, v[10:11]
	v_and_b32_e32 v4, v4, v6
	v_mov_b32_e32 v3, v8
	v_mad_u64_u32 v[3:4], s[18:19], v4, 24, v[3:4]
	v_mov_b32_e32 v8, v3
	global_load_dwordx2 v[3:4], v[7:8], off glc
	s_waitcnt vmcnt(0)
	global_atomic_cmpswap_x2 v[8:9], v2, v[3:6], s[36:37] offset:24 glc
	s_waitcnt vmcnt(0)
	buffer_wbinvl1_vol
	v_cmp_eq_u64_e32 vcc, v[8:9], v[5:6]
	s_or_b64 s[16:17], vcc, s[16:17]
	s_andn2_b64 exec, exec, s[16:17]
	s_cbranch_execnz .LBB4_1698
; %bb.1699:
	s_or_b64 exec, exec, s[16:17]
.LBB4_1700:
	s_or_b64 exec, exec, s[10:11]
.LBB4_1701:
	s_or_b64 exec, exec, s[6:7]
	s_waitcnt vmcnt(0)
	v_mov_b32_e32 v2, 0
	global_load_dwordx2 v[10:11], v2, s[36:37] offset:40
	global_load_dwordx4 v[4:7], v2, s[36:37]
	v_readfirstlane_b32 s6, v8
	v_readfirstlane_b32 s7, v9
	s_mov_b64 s[10:11], exec
	s_waitcnt vmcnt(1)
	v_readfirstlane_b32 s16, v10
	v_readfirstlane_b32 s17, v11
	s_and_b64 s[16:17], s[6:7], s[16:17]
	s_mul_i32 s15, s17, 24
	s_mul_hi_u32 s18, s16, 24
	s_mul_i32 s19, s16, 24
	s_add_i32 s15, s18, s15
	v_mov_b32_e32 v3, s15
	s_waitcnt vmcnt(0)
	v_add_co_u32_e32 v8, vcc, s19, v4
	v_addc_co_u32_e32 v9, vcc, v5, v3, vcc
	s_and_saveexec_b64 s[18:19], s[4:5]
	s_cbranch_execz .LBB4_1703
; %bb.1702:
	v_mov_b32_e32 v10, s10
	v_mov_b32_e32 v11, s11
	;; [unrolled: 1-line block ×4, first 2 shown]
	global_store_dwordx4 v[8:9], v[10:13], off offset:8
.LBB4_1703:
	s_or_b64 exec, exec, s[18:19]
	s_lshl_b64 s[10:11], s[16:17], 12
	v_mov_b32_e32 v3, s11
	v_add_co_u32_e32 v10, vcc, s10, v6
	v_addc_co_u32_e32 v11, vcc, v7, v3, vcc
	s_movk_i32 s10, 0xff1f
	v_and_or_b32 v0, v0, s10, 32
	s_mov_b32 s16, 0
	v_mov_b32_e32 v3, v2
	v_readfirstlane_b32 s10, v10
	v_readfirstlane_b32 s11, v11
	v_add_co_u32_e32 v6, vcc, v10, v39
	s_mov_b32 s17, s16
	s_mov_b32 s18, s16
	;; [unrolled: 1-line block ×3, first 2 shown]
	s_nop 0
	global_store_dwordx4 v39, v[0:3], s[10:11]
	v_addc_co_u32_e32 v7, vcc, 0, v11, vcc
	v_mov_b32_e32 v0, s16
	v_mov_b32_e32 v1, s17
	;; [unrolled: 1-line block ×4, first 2 shown]
	global_store_dwordx4 v39, v[0:3], s[10:11] offset:16
	global_store_dwordx4 v39, v[0:3], s[10:11] offset:32
	;; [unrolled: 1-line block ×3, first 2 shown]
	s_and_saveexec_b64 s[10:11], s[4:5]
	s_cbranch_execz .LBB4_1711
; %bb.1704:
	v_mov_b32_e32 v10, 0
	global_load_dwordx2 v[13:14], v10, s[36:37] offset:32 glc
	global_load_dwordx2 v[0:1], v10, s[36:37] offset:40
	v_mov_b32_e32 v11, s6
	v_mov_b32_e32 v12, s7
	s_waitcnt vmcnt(0)
	v_readfirstlane_b32 s16, v0
	v_readfirstlane_b32 s17, v1
	s_and_b64 s[16:17], s[16:17], s[6:7]
	s_mul_i32 s15, s17, 24
	s_mul_hi_u32 s17, s16, 24
	s_mul_i32 s16, s16, 24
	s_add_i32 s15, s17, s15
	v_mov_b32_e32 v0, s15
	v_add_co_u32_e32 v4, vcc, s16, v4
	v_addc_co_u32_e32 v5, vcc, v5, v0, vcc
	global_store_dwordx2 v[4:5], v[13:14], off
	s_waitcnt vmcnt(0)
	global_atomic_cmpswap_x2 v[2:3], v10, v[11:14], s[36:37] offset:32 glc
	s_waitcnt vmcnt(0)
	v_cmp_ne_u64_e32 vcc, v[2:3], v[13:14]
	s_and_saveexec_b64 s[16:17], vcc
	s_cbranch_execz .LBB4_1707
; %bb.1705:
	s_mov_b64 s[18:19], 0
.LBB4_1706:                             ; =>This Inner Loop Header: Depth=1
	s_sleep 1
	global_store_dwordx2 v[4:5], v[2:3], off
	v_mov_b32_e32 v0, s6
	v_mov_b32_e32 v1, s7
	s_waitcnt vmcnt(0)
	global_atomic_cmpswap_x2 v[0:1], v10, v[0:3], s[36:37] offset:32 glc
	s_waitcnt vmcnt(0)
	v_cmp_eq_u64_e32 vcc, v[0:1], v[2:3]
	v_mov_b32_e32 v3, v1
	s_or_b64 s[18:19], vcc, s[18:19]
	v_mov_b32_e32 v2, v0
	s_andn2_b64 exec, exec, s[18:19]
	s_cbranch_execnz .LBB4_1706
.LBB4_1707:
	s_or_b64 exec, exec, s[16:17]
	v_mov_b32_e32 v3, 0
	global_load_dwordx2 v[0:1], v3, s[36:37] offset:16
	s_mov_b64 s[16:17], exec
	v_mbcnt_lo_u32_b32 v2, s16, 0
	v_mbcnt_hi_u32_b32 v2, s17, v2
	v_cmp_eq_u32_e32 vcc, 0, v2
	s_and_saveexec_b64 s[18:19], vcc
	s_cbranch_execz .LBB4_1709
; %bb.1708:
	s_bcnt1_i32_b64 s15, s[16:17]
	v_mov_b32_e32 v2, s15
	s_waitcnt vmcnt(0)
	global_atomic_add_x2 v[0:1], v[2:3], off offset:8
.LBB4_1709:
	s_or_b64 exec, exec, s[18:19]
	s_waitcnt vmcnt(0)
	global_load_dwordx2 v[2:3], v[0:1], off offset:16
	s_waitcnt vmcnt(0)
	v_cmp_eq_u64_e32 vcc, 0, v[2:3]
	s_cbranch_vccnz .LBB4_1711
; %bb.1710:
	global_load_dword v0, v[0:1], off offset:24
	v_mov_b32_e32 v1, 0
	s_waitcnt vmcnt(0)
	global_store_dwordx2 v[2:3], v[0:1], off
	v_and_b32_e32 v0, 0xffffff, v0
	v_readfirstlane_b32 m0, v0
	s_sendmsg sendmsg(MSG_INTERRUPT)
.LBB4_1711:
	s_or_b64 exec, exec, s[10:11]
	s_branch .LBB4_1715
.LBB4_1712:                             ;   in Loop: Header=BB4_1715 Depth=1
	s_or_b64 exec, exec, s[10:11]
	v_readfirstlane_b32 s10, v0
	s_cmp_eq_u32 s10, 0
	s_cbranch_scc1 .LBB4_1714
; %bb.1713:                             ;   in Loop: Header=BB4_1715 Depth=1
	s_sleep 1
	s_cbranch_execnz .LBB4_1715
	s_branch .LBB4_1717
.LBB4_1714:
	s_branch .LBB4_1717
.LBB4_1715:                             ; =>This Inner Loop Header: Depth=1
	v_mov_b32_e32 v0, 1
	s_and_saveexec_b64 s[10:11], s[4:5]
	s_cbranch_execz .LBB4_1712
; %bb.1716:                             ;   in Loop: Header=BB4_1715 Depth=1
	global_load_dword v0, v[8:9], off offset:20 glc
	s_waitcnt vmcnt(0)
	buffer_wbinvl1_vol
	v_and_b32_e32 v0, 1, v0
	s_branch .LBB4_1712
.LBB4_1717:
	global_load_dwordx2 v[2:3], v[6:7], off
	s_and_saveexec_b64 s[10:11], s[4:5]
	s_cbranch_execz .LBB4_1720
; %bb.1718:
	v_mov_b32_e32 v8, 0
	global_load_dwordx2 v[0:1], v8, s[36:37] offset:40
	global_load_dwordx2 v[9:10], v8, s[36:37] offset:24 glc
	global_load_dwordx2 v[11:12], v8, s[36:37]
	v_mov_b32_e32 v5, s7
	s_mov_b64 s[4:5], 0
	s_waitcnt vmcnt(2)
	v_add_co_u32_e32 v6, vcc, 1, v0
	v_addc_co_u32_e32 v7, vcc, 0, v1, vcc
	v_add_co_u32_e32 v4, vcc, s6, v6
	v_addc_co_u32_e32 v5, vcc, v7, v5, vcc
	v_cmp_eq_u64_e32 vcc, 0, v[4:5]
	v_cndmask_b32_e32 v5, v5, v7, vcc
	v_cndmask_b32_e32 v4, v4, v6, vcc
	v_and_b32_e32 v1, v5, v1
	v_and_b32_e32 v0, v4, v0
	v_mul_lo_u32 v1, v1, 24
	v_mul_hi_u32 v7, v0, 24
	v_mul_lo_u32 v0, v0, 24
	s_waitcnt vmcnt(1)
	v_mov_b32_e32 v6, v9
	v_add_u32_e32 v1, v7, v1
	s_waitcnt vmcnt(0)
	v_add_co_u32_e32 v0, vcc, v11, v0
	v_addc_co_u32_e32 v1, vcc, v12, v1, vcc
	global_store_dwordx2 v[0:1], v[9:10], off
	v_mov_b32_e32 v7, v10
	s_waitcnt vmcnt(0)
	global_atomic_cmpswap_x2 v[6:7], v8, v[4:7], s[36:37] offset:24 glc
	s_waitcnt vmcnt(0)
	v_cmp_ne_u64_e32 vcc, v[6:7], v[9:10]
	s_and_b64 exec, exec, vcc
	s_cbranch_execz .LBB4_1720
.LBB4_1719:                             ; =>This Inner Loop Header: Depth=1
	s_sleep 1
	global_store_dwordx2 v[0:1], v[6:7], off
	s_waitcnt vmcnt(0)
	global_atomic_cmpswap_x2 v[9:10], v8, v[4:7], s[36:37] offset:24 glc
	s_waitcnt vmcnt(0)
	v_cmp_eq_u64_e32 vcc, v[9:10], v[6:7]
	v_mov_b32_e32 v6, v9
	s_or_b64 s[4:5], vcc, s[4:5]
	v_mov_b32_e32 v7, v10
	s_andn2_b64 exec, exec, s[4:5]
	s_cbranch_execnz .LBB4_1719
.LBB4_1720:
	s_or_b64 exec, exec, s[10:11]
.LBB4_1721:
	v_readfirstlane_b32 s4, v50
	s_waitcnt vmcnt(0)
	v_mov_b32_e32 v0, 0
	v_mov_b32_e32 v1, 0
	v_cmp_eq_u32_e64 s[4:5], s4, v50
	s_and_saveexec_b64 s[6:7], s[4:5]
	s_cbranch_execz .LBB4_1727
; %bb.1722:
	v_mov_b32_e32 v4, 0
	global_load_dwordx2 v[7:8], v4, s[36:37] offset:24 glc
	s_waitcnt vmcnt(0)
	buffer_wbinvl1_vol
	global_load_dwordx2 v[0:1], v4, s[36:37] offset:40
	global_load_dwordx2 v[5:6], v4, s[36:37]
	s_waitcnt vmcnt(1)
	v_and_b32_e32 v0, v0, v7
	v_and_b32_e32 v1, v1, v8
	v_mul_lo_u32 v1, v1, 24
	v_mul_hi_u32 v9, v0, 24
	v_mul_lo_u32 v0, v0, 24
	v_add_u32_e32 v1, v9, v1
	s_waitcnt vmcnt(0)
	v_add_co_u32_e32 v0, vcc, v5, v0
	v_addc_co_u32_e32 v1, vcc, v6, v1, vcc
	global_load_dwordx2 v[5:6], v[0:1], off glc
	s_waitcnt vmcnt(0)
	global_atomic_cmpswap_x2 v[0:1], v4, v[5:8], s[36:37] offset:24 glc
	s_waitcnt vmcnt(0)
	buffer_wbinvl1_vol
	v_cmp_ne_u64_e32 vcc, v[0:1], v[7:8]
	s_and_saveexec_b64 s[10:11], vcc
	s_cbranch_execz .LBB4_1726
; %bb.1723:
	s_mov_b64 s[16:17], 0
.LBB4_1724:                             ; =>This Inner Loop Header: Depth=1
	s_sleep 1
	global_load_dwordx2 v[5:6], v4, s[36:37] offset:40
	global_load_dwordx2 v[9:10], v4, s[36:37]
	v_mov_b32_e32 v8, v1
	v_mov_b32_e32 v7, v0
	s_waitcnt vmcnt(1)
	v_and_b32_e32 v0, v5, v7
	s_waitcnt vmcnt(0)
	v_mad_u64_u32 v[0:1], s[18:19], v0, 24, v[9:10]
	v_and_b32_e32 v5, v6, v8
	v_mad_u64_u32 v[5:6], s[18:19], v5, 24, v[1:2]
	v_mov_b32_e32 v1, v5
	global_load_dwordx2 v[5:6], v[0:1], off glc
	s_waitcnt vmcnt(0)
	global_atomic_cmpswap_x2 v[0:1], v4, v[5:8], s[36:37] offset:24 glc
	s_waitcnt vmcnt(0)
	buffer_wbinvl1_vol
	v_cmp_eq_u64_e32 vcc, v[0:1], v[7:8]
	s_or_b64 s[16:17], vcc, s[16:17]
	s_andn2_b64 exec, exec, s[16:17]
	s_cbranch_execnz .LBB4_1724
; %bb.1725:
	s_or_b64 exec, exec, s[16:17]
.LBB4_1726:
	s_or_b64 exec, exec, s[10:11]
.LBB4_1727:
	s_or_b64 exec, exec, s[6:7]
	v_mov_b32_e32 v5, 0
	global_load_dwordx2 v[10:11], v5, s[36:37] offset:40
	global_load_dwordx4 v[6:9], v5, s[36:37]
	v_readfirstlane_b32 s6, v0
	v_readfirstlane_b32 s7, v1
	s_mov_b64 s[10:11], exec
	s_waitcnt vmcnt(1)
	v_readfirstlane_b32 s16, v10
	v_readfirstlane_b32 s17, v11
	s_and_b64 s[16:17], s[6:7], s[16:17]
	s_mul_i32 s15, s17, 24
	s_mul_hi_u32 s18, s16, 24
	s_mul_i32 s19, s16, 24
	s_add_i32 s15, s18, s15
	v_mov_b32_e32 v0, s15
	s_waitcnt vmcnt(0)
	v_add_co_u32_e32 v10, vcc, s19, v6
	v_addc_co_u32_e32 v11, vcc, v7, v0, vcc
	s_and_saveexec_b64 s[18:19], s[4:5]
	s_cbranch_execz .LBB4_1729
; %bb.1728:
	v_mov_b32_e32 v13, s11
	v_mov_b32_e32 v12, s10
	;; [unrolled: 1-line block ×4, first 2 shown]
	global_store_dwordx4 v[10:11], v[12:15], off offset:8
.LBB4_1729:
	s_or_b64 exec, exec, s[18:19]
	s_lshl_b64 s[10:11], s[16:17], 12
	v_mov_b32_e32 v0, s11
	v_add_co_u32_e32 v1, vcc, s10, v8
	v_addc_co_u32_e32 v0, vcc, v9, v0, vcc
	s_movk_i32 s10, 0xff1d
	v_and_or_b32 v2, v2, s10, 34
	s_mov_b32 s16, 0
	v_mov_b32_e32 v4, 10
	v_readfirstlane_b32 s10, v1
	v_readfirstlane_b32 s11, v0
	s_mov_b32 s17, s16
	s_mov_b32 s18, s16
	;; [unrolled: 1-line block ×3, first 2 shown]
	s_nop 1
	global_store_dwordx4 v39, v[2:5], s[10:11]
	v_mov_b32_e32 v0, s16
	v_mov_b32_e32 v1, s17
	;; [unrolled: 1-line block ×4, first 2 shown]
	global_store_dwordx4 v39, v[0:3], s[10:11] offset:16
	global_store_dwordx4 v39, v[0:3], s[10:11] offset:32
	;; [unrolled: 1-line block ×3, first 2 shown]
	s_and_saveexec_b64 s[10:11], s[4:5]
	s_cbranch_execz .LBB4_1737
; %bb.1730:
	v_mov_b32_e32 v8, 0
	global_load_dwordx2 v[14:15], v8, s[36:37] offset:32 glc
	global_load_dwordx2 v[0:1], v8, s[36:37] offset:40
	v_mov_b32_e32 v12, s6
	v_mov_b32_e32 v13, s7
	s_waitcnt vmcnt(0)
	v_readfirstlane_b32 s16, v0
	v_readfirstlane_b32 s17, v1
	s_and_b64 s[16:17], s[16:17], s[6:7]
	s_mul_i32 s15, s17, 24
	s_mul_hi_u32 s17, s16, 24
	s_mul_i32 s16, s16, 24
	s_add_i32 s15, s17, s15
	v_mov_b32_e32 v0, s15
	v_add_co_u32_e32 v4, vcc, s16, v6
	v_addc_co_u32_e32 v5, vcc, v7, v0, vcc
	global_store_dwordx2 v[4:5], v[14:15], off
	s_waitcnt vmcnt(0)
	global_atomic_cmpswap_x2 v[2:3], v8, v[12:15], s[36:37] offset:32 glc
	s_waitcnt vmcnt(0)
	v_cmp_ne_u64_e32 vcc, v[2:3], v[14:15]
	s_and_saveexec_b64 s[16:17], vcc
	s_cbranch_execz .LBB4_1733
; %bb.1731:
	s_mov_b64 s[18:19], 0
.LBB4_1732:                             ; =>This Inner Loop Header: Depth=1
	s_sleep 1
	global_store_dwordx2 v[4:5], v[2:3], off
	v_mov_b32_e32 v0, s6
	v_mov_b32_e32 v1, s7
	s_waitcnt vmcnt(0)
	global_atomic_cmpswap_x2 v[0:1], v8, v[0:3], s[36:37] offset:32 glc
	s_waitcnt vmcnt(0)
	v_cmp_eq_u64_e32 vcc, v[0:1], v[2:3]
	v_mov_b32_e32 v3, v1
	s_or_b64 s[18:19], vcc, s[18:19]
	v_mov_b32_e32 v2, v0
	s_andn2_b64 exec, exec, s[18:19]
	s_cbranch_execnz .LBB4_1732
.LBB4_1733:
	s_or_b64 exec, exec, s[16:17]
	v_mov_b32_e32 v3, 0
	global_load_dwordx2 v[0:1], v3, s[36:37] offset:16
	s_mov_b64 s[16:17], exec
	v_mbcnt_lo_u32_b32 v2, s16, 0
	v_mbcnt_hi_u32_b32 v2, s17, v2
	v_cmp_eq_u32_e32 vcc, 0, v2
	s_and_saveexec_b64 s[18:19], vcc
	s_cbranch_execz .LBB4_1735
; %bb.1734:
	s_bcnt1_i32_b64 s15, s[16:17]
	v_mov_b32_e32 v2, s15
	s_waitcnt vmcnt(0)
	global_atomic_add_x2 v[0:1], v[2:3], off offset:8
.LBB4_1735:
	s_or_b64 exec, exec, s[18:19]
	s_waitcnt vmcnt(0)
	global_load_dwordx2 v[2:3], v[0:1], off offset:16
	s_waitcnt vmcnt(0)
	v_cmp_eq_u64_e32 vcc, 0, v[2:3]
	s_cbranch_vccnz .LBB4_1737
; %bb.1736:
	global_load_dword v0, v[0:1], off offset:24
	v_mov_b32_e32 v1, 0
	s_waitcnt vmcnt(0)
	global_store_dwordx2 v[2:3], v[0:1], off
	v_and_b32_e32 v0, 0xffffff, v0
	v_readfirstlane_b32 m0, v0
	s_sendmsg sendmsg(MSG_INTERRUPT)
.LBB4_1737:
	s_or_b64 exec, exec, s[10:11]
	s_branch .LBB4_1741
.LBB4_1738:                             ;   in Loop: Header=BB4_1741 Depth=1
	s_or_b64 exec, exec, s[10:11]
	v_readfirstlane_b32 s10, v0
	s_cmp_eq_u32 s10, 0
	s_cbranch_scc1 .LBB4_1740
; %bb.1739:                             ;   in Loop: Header=BB4_1741 Depth=1
	s_sleep 1
	s_cbranch_execnz .LBB4_1741
	s_branch .LBB4_1743
.LBB4_1740:
	s_branch .LBB4_1743
.LBB4_1741:                             ; =>This Inner Loop Header: Depth=1
	v_mov_b32_e32 v0, 1
	s_and_saveexec_b64 s[10:11], s[4:5]
	s_cbranch_execz .LBB4_1738
; %bb.1742:                             ;   in Loop: Header=BB4_1741 Depth=1
	global_load_dword v0, v[10:11], off offset:20 glc
	s_waitcnt vmcnt(0)
	buffer_wbinvl1_vol
	v_and_b32_e32 v0, 1, v0
	s_branch .LBB4_1738
.LBB4_1743:
	s_and_saveexec_b64 s[10:11], s[4:5]
	s_cbranch_execz .LBB4_1746
; %bb.1744:
	v_mov_b32_e32 v6, 0
	global_load_dwordx2 v[2:3], v6, s[36:37] offset:40
	global_load_dwordx2 v[7:8], v6, s[36:37] offset:24 glc
	global_load_dwordx2 v[4:5], v6, s[36:37]
	v_mov_b32_e32 v1, s7
	s_mov_b64 s[4:5], 0
	s_waitcnt vmcnt(2)
	v_add_co_u32_e32 v9, vcc, 1, v2
	v_addc_co_u32_e32 v10, vcc, 0, v3, vcc
	v_add_co_u32_e32 v0, vcc, s6, v9
	v_addc_co_u32_e32 v1, vcc, v10, v1, vcc
	v_cmp_eq_u64_e32 vcc, 0, v[0:1]
	v_cndmask_b32_e32 v1, v1, v10, vcc
	v_cndmask_b32_e32 v0, v0, v9, vcc
	v_and_b32_e32 v3, v1, v3
	v_and_b32_e32 v2, v0, v2
	v_mul_lo_u32 v3, v3, 24
	v_mul_hi_u32 v9, v2, 24
	v_mul_lo_u32 v10, v2, 24
	s_waitcnt vmcnt(1)
	v_mov_b32_e32 v2, v7
	v_add_u32_e32 v3, v9, v3
	s_waitcnt vmcnt(0)
	v_add_co_u32_e32 v4, vcc, v4, v10
	v_addc_co_u32_e32 v5, vcc, v5, v3, vcc
	global_store_dwordx2 v[4:5], v[7:8], off
	v_mov_b32_e32 v3, v8
	s_waitcnt vmcnt(0)
	global_atomic_cmpswap_x2 v[2:3], v6, v[0:3], s[36:37] offset:24 glc
	s_waitcnt vmcnt(0)
	v_cmp_ne_u64_e32 vcc, v[2:3], v[7:8]
	s_and_b64 exec, exec, vcc
	s_cbranch_execz .LBB4_1746
.LBB4_1745:                             ; =>This Inner Loop Header: Depth=1
	s_sleep 1
	global_store_dwordx2 v[4:5], v[2:3], off
	s_waitcnt vmcnt(0)
	global_atomic_cmpswap_x2 v[7:8], v6, v[0:3], s[36:37] offset:24 glc
	s_waitcnt vmcnt(0)
	v_cmp_eq_u64_e32 vcc, v[7:8], v[2:3]
	v_mov_b32_e32 v2, v7
	s_or_b64 s[4:5], vcc, s[4:5]
	v_mov_b32_e32 v3, v8
	s_andn2_b64 exec, exec, s[4:5]
	s_cbranch_execnz .LBB4_1745
.LBB4_1746:
	s_or_b64 exec, exec, s[10:11]
	flat_load_dwordx2 v[0:1], v[36:37]
	s_waitcnt vmcnt(0) lgkmcnt(0)
	flat_load_dword v2, v[0:1]
	s_waitcnt vmcnt(0) lgkmcnt(0)
	v_add_u32_e32 v2, 1, v2
	flat_store_dword v[0:1], v2
.LBB4_1747:
	s_or_b64 exec, exec, s[34:35]
	s_getpc_b64 s[4:5]
	s_add_u32 s4, s4, _ZN8migraphx4test4failEv@rel32@lo+4
	s_addc_u32 s5, s5, _ZN8migraphx4test4failEv@rel32@hi+12
	s_swappc_b64 s[30:31], s[4:5]
	; divergent unreachable
.LBB4_1748:
	s_andn2_saveexec_b64 s[4:5], s[28:29]
	s_or_b64 exec, exec, s[4:5]
	v_readlane_b32 s30, v40, 0
	v_readlane_b32 s31, v40, 1
	;; [unrolled: 1-line block ×3, first 2 shown]
	s_or_saveexec_b64 s[6:7], -1
	buffer_load_dword v40, off, s[0:3], s33 offset:60 ; 4-byte Folded Reload
	s_mov_b64 exec, s[6:7]
	s_addk_i32 s32, 0xec00
	s_mov_b32 s33, s4
	s_waitcnt vmcnt(0)
	s_setpc_b64 s[30:31]
.Lfunc_end4:
	.size	_ZL26search_stress_long_patternRN8migraphx4test12test_managerE, .Lfunc_end4-_ZL26search_stress_long_patternRN8migraphx4test12test_managerE
                                        ; -- End function
	.section	.AMDGPU.csdata,"",@progbits
; Function info:
; codeLenInByte = 59540
; NumSgprs: 52
; NumVgprs: 51
; ScratchSize: 80
; MemoryBound: 0
	.text
	.protected	gpu_test_kernel         ; -- Begin function gpu_test_kernel
	.globl	gpu_test_kernel
	.p2align	8
	.type	gpu_test_kernel,@function
gpu_test_kernel:                        ; @gpu_test_kernel
; %bb.0:
	s_load_dwordx2 s[4:5], s[4:5], 0x4
	s_add_u32 flat_scratch_lo, s8, s13
	s_addc_u32 flat_scratch_hi, s9, 0
	s_add_u32 s0, s0, s13
	s_addc_u32 s1, s1, 0
	s_waitcnt lgkmcnt(0)
	s_lshr_b32 s4, s4, 16
	s_mul_i32 s4, s4, s5
	v_mul_lo_u32 v3, s4, v0
	s_load_dwordx2 s[8:9], s[6:7], 0x8
	s_load_dword s49, s[6:7], 0x0
	s_mov_b32 s48, s12
	v_mad_u32_u24 v1, v1, s5, v3
	v_add_lshl_u32 v41, v1, v2, 3
	s_waitcnt lgkmcnt(0)
	v_mov_b32_e32 v1, s8
	v_mov_b32_e32 v2, s9
	s_mov_b64 s[50:51], src_shared_base
	s_cmp_lt_i32 s49, 5
	s_mov_b64 s[4:5], -1
	s_mov_b32 s32, 0
	ds_write_b64 v41, v[1:2]
	s_cbranch_scc1 .LBB5_4
; %bb.1:
	s_cmp_eq_u32 s49, 5
	s_cbranch_scc0 .LBB5_3
; %bb.2:
	s_add_u32 s8, s6, 16
	s_addc_u32 s9, s7, 0
	v_mov_b32_e32 v1, s51
	s_mov_b32 s12, s10
	s_mov_b32 s13, s11
	;; [unrolled: 1-line block ×3, first 2 shown]
	v_mov_b32_e32 v31, v0
	v_mov_b32_e32 v42, v0
	;; [unrolled: 1-line block ×3, first 2 shown]
	s_getpc_b64 s[4:5]
	s_add_u32 s4, s4, _ZL26search_stress_long_patternRN8migraphx4test12test_managerE@rel32@lo+4
	s_addc_u32 s5, s5, _ZL26search_stress_long_patternRN8migraphx4test12test_managerE@rel32@hi+12
	s_mov_b64 s[52:53], s[6:7]
	s_mov_b32 s54, s11
	s_mov_b32 s50, s10
	s_swappc_b64 s[30:31], s[4:5]
	v_mov_b32_e32 v0, v42
	s_mov_b32 s10, s50
	s_mov_b32 s11, s54
	s_mov_b64 s[6:7], s[52:53]
.LBB5_3:
	s_mov_b64 s[4:5], 0
.LBB5_4:
	s_andn2_b64 vcc, exec, s[4:5]
	s_cbranch_vccnz .LBB5_7
; %bb.5:
	s_cmp_lg_u32 s49, 3
	s_cbranch_scc1 .LBB5_7
; %bb.6:
	s_add_u32 s8, s6, 16
	s_addc_u32 s9, s7, 0
	v_mov_b32_e32 v1, s51
	s_mov_b32 s12, s10
	s_mov_b32 s13, s11
	;; [unrolled: 1-line block ×3, first 2 shown]
	v_mov_b32_e32 v31, v0
	v_mov_b32_e32 v0, v41
	s_getpc_b64 s[4:5]
	s_add_u32 s4, s4, _ZL37search_pattern_appears_multiple_timesRN8migraphx4test12test_managerE@rel32@lo+4
	s_addc_u32 s5, s5, _ZL37search_pattern_appears_multiple_timesRN8migraphx4test12test_managerE@rel32@hi+12
	s_swappc_b64 s[30:31], s[4:5]
.LBB5_7:
	s_endpgm
	.section	.rodata,"a",@progbits
	.p2align	6, 0x0
	.amdhsa_kernel gpu_test_kernel
		.amdhsa_group_segment_fixed_size 8192
		.amdhsa_private_segment_fixed_size 80
		.amdhsa_kernarg_size 272
		.amdhsa_user_sgpr_count 10
		.amdhsa_user_sgpr_private_segment_buffer 1
		.amdhsa_user_sgpr_dispatch_ptr 1
		.amdhsa_user_sgpr_queue_ptr 0
		.amdhsa_user_sgpr_kernarg_segment_ptr 1
		.amdhsa_user_sgpr_dispatch_id 0
		.amdhsa_user_sgpr_flat_scratch_init 1
		.amdhsa_user_sgpr_private_segment_size 0
		.amdhsa_uses_dynamic_stack 0
		.amdhsa_system_sgpr_private_segment_wavefront_offset 1
		.amdhsa_system_sgpr_workgroup_id_x 1
		.amdhsa_system_sgpr_workgroup_id_y 1
		.amdhsa_system_sgpr_workgroup_id_z 1
		.amdhsa_system_sgpr_workgroup_info 0
		.amdhsa_system_vgpr_workitem_id 2
		.amdhsa_next_free_vgpr 51
		.amdhsa_next_free_sgpr 55
		.amdhsa_reserve_vcc 1
		.amdhsa_reserve_flat_scratch 1
		.amdhsa_float_round_mode_32 0
		.amdhsa_float_round_mode_16_64 0
		.amdhsa_float_denorm_mode_32 3
		.amdhsa_float_denorm_mode_16_64 3
		.amdhsa_dx10_clamp 1
		.amdhsa_ieee_mode 1
		.amdhsa_fp16_overflow 0
		.amdhsa_exception_fp_ieee_invalid_op 0
		.amdhsa_exception_fp_denorm_src 0
		.amdhsa_exception_fp_ieee_div_zero 0
		.amdhsa_exception_fp_ieee_overflow 0
		.amdhsa_exception_fp_ieee_underflow 0
		.amdhsa_exception_fp_ieee_inexact 0
		.amdhsa_exception_int_div_zero 0
	.end_amdhsa_kernel
	.text
.Lfunc_end5:
	.size	gpu_test_kernel, .Lfunc_end5-gpu_test_kernel
                                        ; -- End function
	.section	.AMDGPU.csdata,"",@progbits
; Kernel info:
; codeLenInByte = 296
; NumSgprs: 61
; NumVgprs: 51
; ScratchSize: 80
; MemoryBound: 0
; FloatMode: 240
; IeeeMode: 1
; LDSByteSize: 8192 bytes/workgroup (compile time only)
; SGPRBlocks: 7
; VGPRBlocks: 12
; NumSGPRsForWavesPerEU: 61
; NumVGPRsForWavesPerEU: 51
; Occupancy: 4
; WaveLimiterHint : 1
; COMPUTE_PGM_RSRC2:SCRATCH_EN: 1
; COMPUTE_PGM_RSRC2:USER_SGPR: 10
; COMPUTE_PGM_RSRC2:TRAP_HANDLER: 0
; COMPUTE_PGM_RSRC2:TGID_X_EN: 1
; COMPUTE_PGM_RSRC2:TGID_Y_EN: 1
; COMPUTE_PGM_RSRC2:TGID_Z_EN: 1
; COMPUTE_PGM_RSRC2:TIDIG_COMP_CNT: 2
	.type	.str.1,@object                  ; @.str.1
	.section	.rodata.str1.1,"aMS",@progbits,1
.str.1:
	.asciz	"/root/src/amdgpu-assembly/repos/ROCm__AMDMIGraphX/_shim/test_algorithm_12_shim.cpp"
	.size	.str.1, 83

	.type	.str.2,@object                  ; @.str.2
.str.2:
	.asciz	"    FAILED: "
	.size	.str.2, 13

	.type	.str.3,@object                  ; @.str.3
.str.3:
	.asciz	" [ "
	.size	.str.3, 4

	.type	.str.4,@object                  ; @.str.4
.str.4:
	.asciz	" ]"
	.size	.str.4, 3

	.type	.str.5,@object                  ; @.str.5
.str.5:
	.asciz	"%s"
	.size	.str.5, 3

	.type	.str.6,@object                  ; @.str.6
.str.6:
	.asciz	"%c"
	.size	.str.6, 3

	.type	.str.7,@object                  ; @.str.7
.str.7:
	.asciz	"%li"
	.size	.str.7, 4

	.type	.str.8,@object                  ; @.str.8
.str.8:
	.asciz	" "
	.size	.str.8, 2

	.type	.str.10,@object                 ; @.str.10
.str.10:
	.asciz	"=="
	.size	.str.10, 3

	.type	.str.11,@object                 ; @.str.11
.str.11:
	.asciz	"true"
	.size	.str.11, 5

	.type	.str.12,@object                 ; @.str.12
.str.12:
	.asciz	"false"
	.size	.str.12, 6

	.type	.str.14,@object                 ; @.str.14
.str.14:
	.asciz	"result == haystack.begin() + 1"
	.size	.str.14, 31

	.type	__PRETTY_FUNCTION__._ZL37search_pattern_appears_multiple_timesRN8migraphx4test12test_managerE,@object ; @__PRETTY_FUNCTION__._ZL37search_pattern_appears_multiple_timesRN8migraphx4test12test_managerE
__PRETTY_FUNCTION__._ZL37search_pattern_appears_multiple_timesRN8migraphx4test12test_managerE:
	.asciz	"void search_pattern_appears_multiple_times(migraphx::test::test_manager &)"
	.size	__PRETTY_FUNCTION__._ZL37search_pattern_appears_multiple_timesRN8migraphx4test12test_managerE, 75

	.type	.str.16,@object                 ; @.str.16
.str.16:
	.asciz	"result == haystack.begin() + 5"
	.size	.str.16, 31

	.type	__PRETTY_FUNCTION__._ZL26search_stress_long_patternRN8migraphx4test12test_managerE,@object ; @__PRETTY_FUNCTION__._ZL26search_stress_long_patternRN8migraphx4test12test_managerE
__PRETTY_FUNCTION__._ZL26search_stress_long_patternRN8migraphx4test12test_managerE:
	.asciz	"void search_stress_long_pattern(migraphx::test::test_manager &)"
	.size	__PRETTY_FUNCTION__._ZL26search_stress_long_patternRN8migraphx4test12test_managerE, 64

	.type	__hip_cuid_1365e67ee9045e59,@object ; @__hip_cuid_1365e67ee9045e59
	.section	.bss,"aw",@nobits
	.globl	__hip_cuid_1365e67ee9045e59
__hip_cuid_1365e67ee9045e59:
	.byte	0                               ; 0x0
	.size	__hip_cuid_1365e67ee9045e59, 1

	.ident	"AMD clang version 19.0.0git (https://github.com/RadeonOpenCompute/llvm-project roc-6.4.0 25133 c7fe45cf4b819c5991fe208aaa96edf142730f1d)"
	.section	".note.GNU-stack","",@progbits
	.addrsig
	.addrsig_sym __hip_cuid_1365e67ee9045e59
	.amdgpu_metadata
---
amdhsa.kernels:
  - .args:
      - .offset:         0
        .size:           4
        .value_kind:     by_value
      - .address_space:  global
        .offset:         8
        .size:           8
        .value_kind:     global_buffer
      - .offset:         16
        .size:           4
        .value_kind:     hidden_block_count_x
      - .offset:         20
        .size:           4
        .value_kind:     hidden_block_count_y
      - .offset:         24
        .size:           4
        .value_kind:     hidden_block_count_z
      - .offset:         28
        .size:           2
        .value_kind:     hidden_group_size_x
      - .offset:         30
        .size:           2
        .value_kind:     hidden_group_size_y
      - .offset:         32
        .size:           2
        .value_kind:     hidden_group_size_z
      - .offset:         34
        .size:           2
        .value_kind:     hidden_remainder_x
      - .offset:         36
        .size:           2
        .value_kind:     hidden_remainder_y
      - .offset:         38
        .size:           2
        .value_kind:     hidden_remainder_z
      - .offset:         56
        .size:           8
        .value_kind:     hidden_global_offset_x
      - .offset:         64
        .size:           8
        .value_kind:     hidden_global_offset_y
      - .offset:         72
        .size:           8
        .value_kind:     hidden_global_offset_z
      - .offset:         80
        .size:           2
        .value_kind:     hidden_grid_dims
      - .offset:         96
        .size:           8
        .value_kind:     hidden_hostcall_buffer
    .group_segment_fixed_size: 8192
    .kernarg_segment_align: 8
    .kernarg_segment_size: 272
    .language:       OpenCL C
    .language_version:
      - 2
      - 0
    .max_flat_workgroup_size: 1024
    .name:           gpu_test_kernel
    .private_segment_fixed_size: 80
    .sgpr_count:     61
    .sgpr_spill_count: 0
    .symbol:         gpu_test_kernel.kd
    .uniform_work_group_size: 1
    .uses_dynamic_stack: false
    .vgpr_count:     51
    .vgpr_spill_count: 0
    .wavefront_size: 64
amdhsa.target:   amdgcn-amd-amdhsa--gfx906
amdhsa.version:
  - 1
  - 2
...

	.end_amdgpu_metadata
